;; amdgpu-corpus repo=ROCm/rocFFT kind=compiled arch=gfx906 opt=O3
	.text
	.amdgcn_target "amdgcn-amd-amdhsa--gfx906"
	.amdhsa_code_object_version 6
	.protected	bluestein_single_fwd_len1890_dim1_half_op_CI_CI ; -- Begin function bluestein_single_fwd_len1890_dim1_half_op_CI_CI
	.globl	bluestein_single_fwd_len1890_dim1_half_op_CI_CI
	.p2align	8
	.type	bluestein_single_fwd_len1890_dim1_half_op_CI_CI,@function
bluestein_single_fwd_len1890_dim1_half_op_CI_CI: ; @bluestein_single_fwd_len1890_dim1_half_op_CI_CI
; %bb.0:
	s_load_dwordx4 s[12:15], s[4:5], 0x28
	v_mul_u32_u24_e32 v1, 0x209, v0
	v_add_u32_sdwa v26, s6, v1 dst_sel:DWORD dst_unused:UNUSED_PAD src0_sel:DWORD src1_sel:WORD_1
	v_mov_b32_e32 v27, 0
	s_waitcnt lgkmcnt(0)
	v_cmp_gt_u64_e32 vcc, s[12:13], v[26:27]
	s_and_saveexec_b64 s[0:1], vcc
	s_cbranch_execz .LBB0_23
; %bb.1:
	s_load_dwordx4 s[8:11], s[4:5], 0x18
	s_load_dwordx2 s[16:17], s[4:5], 0x0
	s_movk_i32 s6, 0x7e
	v_mul_lo_u16_sdwa v1, v1, s6 dst_sel:DWORD dst_unused:UNUSED_PAD src0_sel:WORD_1 src1_sel:DWORD
	v_sub_u16_e32 v82, v0, v1
	s_waitcnt lgkmcnt(0)
	s_load_dwordx4 s[0:3], s[8:9], 0x0
	v_lshlrev_b32_e32 v69, 2, v82
	global_load_dword v84, v69, s[16:17]
	s_movk_i32 s18, 0x1000
	s_load_dwordx2 s[12:13], s[4:5], 0x38
	s_waitcnt lgkmcnt(0)
	v_mad_u64_u32 v[0:1], s[6:7], s2, v26, 0
	v_mad_u64_u32 v[2:3], s[6:7], s0, v82, 0
	s_mul_hi_u32 s6, s0, 0x3b1
	v_mad_u64_u32 v[4:5], s[2:3], s3, v26, v[1:2]
	v_mad_u64_u32 v[5:6], s[2:3], s1, v82, v[3:4]
	v_mov_b32_e32 v1, v4
	v_lshlrev_b64 v[0:1], 2, v[0:1]
	v_mov_b32_e32 v6, s15
	v_mov_b32_e32 v3, v5
	v_add_co_u32_e32 v4, vcc, s14, v0
	v_addc_co_u32_e32 v5, vcc, v6, v1, vcc
	v_lshlrev_b64 v[0:1], 2, v[2:3]
	s_mul_i32 s3, s1, 0x3b1
	v_add_co_u32_e32 v0, vcc, v4, v0
	v_addc_co_u32_e32 v1, vcc, v5, v1, vcc
	global_load_dword v4, v[0:1], off
	s_mul_i32 s2, s0, 0x3b1
	s_add_i32 s3, s6, s3
	s_lshl_b64 s[2:3], s[2:3], 2
	v_mov_b32_e32 v5, s3
	v_add_co_u32_e32 v0, vcc, s2, v0
	s_mul_hi_u32 s15, s0, 0xfffffccd
	v_addc_co_u32_e32 v1, vcc, v1, v5, vcc
	s_mulk_i32 s1, 0xfccd
	s_mul_i32 s14, s0, 0xfffffccd
	s_sub_i32 s0, s15, s0
	global_load_dword v6, v[0:1], off
	global_load_dword v83, v69, s[16:17] offset:3780
	v_mov_b32_e32 v2, s17
	v_add_co_u32_e64 v24, s[6:7], s16, v69
	s_add_i32 s15, s0, s1
	v_addc_co_u32_e64 v25, vcc, 0, v2, s[6:7]
	s_lshl_b64 s[14:15], s[14:15], 2
	v_mov_b32_e32 v7, s15
	v_add_co_u32_e32 v0, vcc, s14, v0
	v_addc_co_u32_e32 v1, vcc, v1, v7, vcc
	s_load_dwordx4 s[8:11], s[10:11], 0x0
	global_load_dword v81, v69, s[16:17] offset:504
	global_load_dword v79, v69, s[16:17] offset:1008
	global_load_dword v8, v[0:1], off
	v_add_co_u32_e32 v2, vcc, s18, v24
	v_addc_co_u32_e32 v3, vcc, 0, v25, vcc
	v_add_co_u32_e32 v0, vcc, s2, v0
	v_addc_co_u32_e32 v1, vcc, v1, v5, vcc
	global_load_dword v9, v[0:1], off
	global_load_dword v80, v[2:3], off offset:188
	global_load_dword v78, v[2:3], off offset:692
	v_add_co_u32_e32 v0, vcc, s14, v0
	v_addc_co_u32_e32 v1, vcc, v1, v7, vcc
	global_load_dword v10, v[0:1], off
	v_add_co_u32_e32 v0, vcc, s2, v0
	v_addc_co_u32_e32 v1, vcc, v1, v5, vcc
	global_load_dword v11, v[0:1], off
	global_load_dword v77, v69, s[16:17] offset:1512
	global_load_dword v75, v69, s[16:17] offset:2016
	;; [unrolled: 1-line block ×4, first 2 shown]
	v_add_co_u32_e32 v0, vcc, s14, v0
	v_addc_co_u32_e32 v1, vcc, v1, v7, vcc
	global_load_dword v12, v[0:1], off
	global_load_dword v76, v[2:3], off offset:1196
	v_add_co_u32_e32 v0, vcc, s2, v0
	v_addc_co_u32_e32 v1, vcc, v1, v5, vcc
	global_load_dword v13, v[0:1], off
	v_add_co_u32_e32 v0, vcc, s14, v0
	v_addc_co_u32_e32 v1, vcc, v1, v7, vcc
	global_load_dword v16, v[0:1], off
	;; [unrolled: 3-line block ×3, first 2 shown]
	global_load_dword v74, v[2:3], off offset:1700
	v_add_co_u32_e32 v0, vcc, s14, v0
	v_addc_co_u32_e32 v1, vcc, v1, v7, vcc
	v_cmp_gt_u16_e64 s[0:1], 63, v82
	s_waitcnt vmcnt(20)
	v_lshrrev_b32_e32 v14, 16, v4
	v_mul_f16_sdwa v15, v84, v14 dst_sel:DWORD dst_unused:UNUSED_PAD src0_sel:WORD_1 src1_sel:DWORD
	v_fma_f16 v15, v84, v4, v15
	v_mul_f16_sdwa v4, v84, v4 dst_sel:DWORD dst_unused:UNUSED_PAD src0_sel:WORD_1 src1_sel:DWORD
	v_fma_f16 v4, v84, v14, -v4
	global_load_dword v14, v[0:1], off
	v_add_co_u32_e32 v0, vcc, s2, v0
	v_addc_co_u32_e32 v1, vcc, v1, v5, vcc
	global_load_dword v19, v[0:1], off
	global_load_dword v72, v[2:3], off offset:2204
	v_add_co_u32_e32 v0, vcc, s14, v0
	v_addc_co_u32_e32 v1, vcc, v1, v7, vcc
	global_load_dword v7, v[0:1], off
	v_add_co_u32_e32 v0, vcc, s2, v0
	v_addc_co_u32_e32 v1, vcc, v1, v5, vcc
	global_load_dword v5, v[0:1], off
	global_load_dword v70, v[2:3], off offset:2708
	v_pack_b32_f16 v4, v15, v4
	s_waitcnt vmcnt(25)
	v_lshrrev_b32_e32 v15, 16, v6
	s_waitcnt vmcnt(24)
	v_mul_f16_sdwa v18, v83, v15 dst_sel:DWORD dst_unused:UNUSED_PAD src0_sel:WORD_1 src1_sel:DWORD
	v_fma_f16 v18, v83, v6, v18
	v_mul_f16_sdwa v6, v83, v6 dst_sel:DWORD dst_unused:UNUSED_PAD src0_sel:WORD_1 src1_sel:DWORD
	v_fma_f16 v6, v83, v15, -v6
	v_pack_b32_f16 v2, v18, v6
	ds_write_b32 v69, v2 offset:3780
	s_waitcnt vmcnt(21)
	v_lshrrev_b32_e32 v2, 16, v8
	v_mul_f16_sdwa v3, v81, v2 dst_sel:DWORD dst_unused:UNUSED_PAD src0_sel:WORD_1 src1_sel:DWORD
	v_mul_f16_sdwa v6, v81, v8 dst_sel:DWORD dst_unused:UNUSED_PAD src0_sel:WORD_1 src1_sel:DWORD
	v_fma_f16 v3, v81, v8, v3
	v_fma_f16 v2, v81, v2, -v6
	v_pack_b32_f16 v2, v3, v2
	ds_write2_b32 v69, v4, v2 offset1:126
	s_waitcnt vmcnt(20)
	v_lshrrev_b32_e32 v2, 16, v9
	s_waitcnt vmcnt(19)
	v_mul_f16_sdwa v3, v80, v2 dst_sel:DWORD dst_unused:UNUSED_PAD src0_sel:WORD_1 src1_sel:DWORD
	v_mul_f16_sdwa v4, v80, v9 dst_sel:DWORD dst_unused:UNUSED_PAD src0_sel:WORD_1 src1_sel:DWORD
	v_fma_f16 v3, v80, v9, v3
	v_fma_f16 v2, v80, v2, -v4
	v_pack_b32_f16 v3, v3, v2
	s_waitcnt vmcnt(17)
	v_lshrrev_b32_e32 v2, 16, v10
	v_mul_f16_sdwa v4, v79, v2 dst_sel:DWORD dst_unused:UNUSED_PAD src0_sel:WORD_1 src1_sel:DWORD
	v_mul_f16_sdwa v6, v79, v10 dst_sel:DWORD dst_unused:UNUSED_PAD src0_sel:WORD_1 src1_sel:DWORD
	v_fma_f16 v4, v79, v10, v4
	v_fma_f16 v2, v79, v2, -v6
	v_pack_b32_f16 v4, v4, v2
	s_waitcnt vmcnt(16)
	v_lshrrev_b32_e32 v2, 16, v11
	v_mul_f16_sdwa v6, v78, v2 dst_sel:DWORD dst_unused:UNUSED_PAD src0_sel:WORD_1 src1_sel:DWORD
	v_mul_f16_sdwa v8, v78, v11 dst_sel:DWORD dst_unused:UNUSED_PAD src0_sel:WORD_1 src1_sel:DWORD
	v_fma_f16 v6, v78, v11, v6
	v_fma_f16 v2, v78, v2, -v8
	v_pack_b32_f16 v6, v6, v2
	v_add_u32_e32 v2, 0x1000, v69
	ds_write2_b32 v2, v3, v6 offset0:47 offset1:173
	s_waitcnt vmcnt(11)
	v_lshrrev_b32_e32 v3, 16, v12
	v_mul_f16_sdwa v6, v77, v3 dst_sel:DWORD dst_unused:UNUSED_PAD src0_sel:WORD_1 src1_sel:DWORD
	v_mul_f16_sdwa v8, v77, v12 dst_sel:DWORD dst_unused:UNUSED_PAD src0_sel:WORD_1 src1_sel:DWORD
	v_fma_f16 v6, v77, v12, v6
	v_fma_f16 v3, v77, v3, -v8
	v_pack_b32_f16 v6, v6, v3
	v_add_u32_e32 v3, 0x200, v69
	ds_write2_b32 v3, v4, v6 offset0:124 offset1:250
	s_waitcnt vmcnt(9)
	v_lshrrev_b32_e32 v4, 16, v13
	v_mul_f16_sdwa v6, v76, v4 dst_sel:DWORD dst_unused:UNUSED_PAD src0_sel:WORD_1 src1_sel:DWORD
	v_mul_f16_sdwa v8, v76, v13 dst_sel:DWORD dst_unused:UNUSED_PAD src0_sel:WORD_1 src1_sel:DWORD
	v_fma_f16 v6, v76, v13, v6
	v_fma_f16 v4, v76, v4, -v8
	v_pack_b32_f16 v4, v6, v4
	s_waitcnt vmcnt(8)
	v_lshrrev_b32_e32 v6, 16, v16
	v_mul_f16_sdwa v8, v75, v6 dst_sel:DWORD dst_unused:UNUSED_PAD src0_sel:WORD_1 src1_sel:DWORD
	v_mul_f16_sdwa v9, v75, v16 dst_sel:DWORD dst_unused:UNUSED_PAD src0_sel:WORD_1 src1_sel:DWORD
	v_fma_f16 v8, v75, v16, v8
	v_fma_f16 v6, v75, v6, -v9
	v_pack_b32_f16 v6, v8, v6
	s_waitcnt vmcnt(7)
	v_lshrrev_b32_e32 v8, 16, v17
	s_waitcnt vmcnt(6)
	v_mul_f16_sdwa v9, v74, v8 dst_sel:DWORD dst_unused:UNUSED_PAD src0_sel:WORD_1 src1_sel:DWORD
	v_mul_f16_sdwa v10, v74, v17 dst_sel:DWORD dst_unused:UNUSED_PAD src0_sel:WORD_1 src1_sel:DWORD
	v_fma_f16 v9, v74, v17, v9
	v_fma_f16 v8, v74, v8, -v10
	v_pack_b32_f16 v8, v9, v8
	v_add_u32_e32 v10, 0x1400, v69
	ds_write2_b32 v10, v4, v8 offset0:43 offset1:169
	v_add_u32_e32 v12, 0x600, v69
	s_waitcnt vmcnt(5)
	v_lshrrev_b32_e32 v4, 16, v14
	v_mul_f16_sdwa v8, v73, v4 dst_sel:DWORD dst_unused:UNUSED_PAD src0_sel:WORD_1 src1_sel:DWORD
	v_mul_f16_sdwa v9, v73, v14 dst_sel:DWORD dst_unused:UNUSED_PAD src0_sel:WORD_1 src1_sel:DWORD
	v_fma_f16 v8, v73, v14, v8
	v_fma_f16 v4, v73, v4, -v9
	v_pack_b32_f16 v4, v8, v4
	ds_write2_b32 v12, v6, v4 offset0:120 offset1:246
	s_waitcnt vmcnt(4)
	v_lshrrev_b32_e32 v4, 16, v19
	s_waitcnt vmcnt(3)
	v_mul_f16_sdwa v6, v72, v4 dst_sel:DWORD dst_unused:UNUSED_PAD src0_sel:WORD_1 src1_sel:DWORD
	v_mul_f16_sdwa v8, v72, v19 dst_sel:DWORD dst_unused:UNUSED_PAD src0_sel:WORD_1 src1_sel:DWORD
	v_fma_f16 v6, v72, v19, v6
	v_fma_f16 v4, v72, v4, -v8
	v_pack_b32_f16 v4, v6, v4
	s_waitcnt vmcnt(2)
	v_lshrrev_b32_e32 v6, 16, v7
	v_mul_f16_sdwa v8, v71, v6 dst_sel:DWORD dst_unused:UNUSED_PAD src0_sel:WORD_1 src1_sel:DWORD
	v_fma_f16 v8, v71, v7, v8
	v_mul_f16_sdwa v7, v71, v7 dst_sel:DWORD dst_unused:UNUSED_PAD src0_sel:WORD_1 src1_sel:DWORD
	v_fma_f16 v6, v71, v6, -v7
	v_pack_b32_f16 v6, v8, v6
	ds_write_b32 v69, v6 offset:3024
	s_waitcnt vmcnt(1)
	v_lshrrev_b32_e32 v6, 16, v5
	s_waitcnt vmcnt(0)
	v_mul_f16_sdwa v7, v70, v6 dst_sel:DWORD dst_unused:UNUSED_PAD src0_sel:WORD_1 src1_sel:DWORD
	v_fma_f16 v7, v70, v5, v7
	v_mul_f16_sdwa v5, v70, v5 dst_sel:DWORD dst_unused:UNUSED_PAD src0_sel:WORD_1 src1_sel:DWORD
	v_fma_f16 v5, v70, v6, -v5
	v_pack_b32_f16 v5, v7, v5
	v_add_u32_e32 v13, 0x1800, v69
	ds_write2_b32 v13, v4, v5 offset0:39 offset1:165
	s_and_saveexec_b64 s[18:19], s[0:1]
	s_cbranch_execz .LBB0_3
; %bb.2:
	v_mov_b32_e32 v4, s15
	v_add_co_u32_e32 v0, vcc, s14, v0
	v_addc_co_u32_e32 v1, vcc, v1, v4, vcc
	global_load_dword v4, v[0:1], off
	global_load_dword v5, v[24:25], off offset:3528
	v_mov_b32_e32 v6, s3
	v_add_co_u32_e32 v0, vcc, s2, v0
	v_addc_co_u32_e32 v1, vcc, v1, v6, vcc
	global_load_dword v6, v[0:1], off
	v_add_co_u32_e32 v0, vcc, 0x1000, v24
	v_addc_co_u32_e32 v1, vcc, 0, v25, vcc
	global_load_dword v0, v[0:1], off offset:3212
	s_waitcnt vmcnt(3)
	v_lshrrev_b32_e32 v1, 16, v4
	s_waitcnt vmcnt(2)
	v_mul_f16_sdwa v7, v5, v4 dst_sel:DWORD dst_unused:UNUSED_PAD src0_sel:WORD_1 src1_sel:DWORD
	v_mul_f16_sdwa v8, v5, v1 dst_sel:DWORD dst_unused:UNUSED_PAD src0_sel:WORD_1 src1_sel:DWORD
	v_fma_f16 v1, v5, v1, -v7
	v_fma_f16 v4, v5, v4, v8
	v_pack_b32_f16 v1, v4, v1
	ds_write_b32 v69, v1 offset:3528
	s_waitcnt vmcnt(1)
	v_lshrrev_b32_e32 v7, 16, v6
	s_waitcnt vmcnt(0)
	v_mul_f16_sdwa v9, v0, v6 dst_sel:DWORD dst_unused:UNUSED_PAD src0_sel:WORD_1 src1_sel:DWORD
	v_mul_f16_sdwa v5, v0, v7 dst_sel:DWORD dst_unused:UNUSED_PAD src0_sel:WORD_1 src1_sel:DWORD
	v_fma_f16 v7, v0, v7, -v9
	v_fma_f16 v0, v0, v6, v5
	v_pack_b32_f16 v0, v0, v7
	ds_write_b32 v69, v0 offset:7308
.LBB0_3:
	s_or_b64 exec, exec, s[18:19]
	v_add_u32_e32 v0, 0xb00, v69
	s_waitcnt lgkmcnt(0)
	s_barrier
	ds_read2_b32 v[6:7], v69 offset1:126
	ds_read2_b32 v[0:1], v0 offset0:52 offset1:241
	ds_read2_b32 v[8:9], v2 offset0:47 offset1:173
	;; [unrolled: 1-line block ×6, first 2 shown]
	s_load_dwordx2 s[4:5], s[4:5], 0x8
                                        ; implicit-def: $vgpr16
                                        ; implicit-def: $vgpr17
	s_and_saveexec_b64 s[2:3], s[0:1]
	s_cbranch_execz .LBB0_5
; %bb.4:
	ds_read_b32 v16, v69 offset:3528
	ds_read_b32 v17, v69 offset:7308
.LBB0_5:
	s_or_b64 exec, exec, s[2:3]
	v_add_co_u32_e32 v59, vcc, 0x7e, v82
	s_movk_i32 s2, 0x17a
	s_waitcnt lgkmcnt(0)
	v_pk_add_f16 v18, v6, v1 neg_lo:[0,1] neg_hi:[0,1]
	v_pk_add_f16 v8, v7, v8 neg_lo:[0,1] neg_hi:[0,1]
	v_pk_add_f16 v1, v0, v13 neg_lo:[0,1] neg_hi:[0,1]
	v_lshlrev_b16_e32 v13, 1, v82
	v_add_co_u32_e32 v23, vcc, 0xfc, v82
	v_add_co_u32_e32 v15, vcc, s2, v82
	s_movk_i32 s2, 0x1f8
	v_pk_add_f16 v9, v4, v9 neg_lo:[0,1] neg_hi:[0,1]
	v_pk_add_f16 v19, v3, v12 neg_lo:[0,1] neg_hi:[0,1]
	;; [unrolled: 1-line block ×3, first 2 shown]
	v_lshlrev_b32_e32 v86, 2, v13
	v_pk_fma_f16 v17, v6, 2.0, v18 op_sel_hi:[1,0,1] neg_lo:[0,0,1] neg_hi:[0,0,1]
	v_lshlrev_b32_e32 v87, 3, v59
	v_pk_fma_f16 v7, v7, 2.0, v8 op_sel_hi:[1,0,1] neg_lo:[0,0,1] neg_hi:[0,0,1]
	v_add_co_u32_e32 v14, vcc, s2, v82
	s_movk_i32 s2, 0x372
	v_pk_add_f16 v10, v5, v10 neg_lo:[0,1] neg_hi:[0,1]
	s_barrier
	ds_write_b64 v86, v[17:18]
	ds_write_b64 v87, v[7:8]
	v_lshlrev_b32_e32 v88, 3, v23
	v_pk_fma_f16 v8, v4, 2.0, v9 op_sel_hi:[1,0,1] neg_lo:[0,0,1] neg_hi:[0,0,1]
	v_lshlrev_b32_e32 v91, 3, v82
	v_add_co_u32_e32 v20, vcc, s2, v82
	v_pk_add_f16 v11, v2, v11 neg_lo:[0,1] neg_hi:[0,1]
	ds_write_b64 v88, v[8:9]
	v_lshlrev_b32_e32 v89, 3, v15
	v_pk_fma_f16 v9, v5, 2.0, v10 op_sel_hi:[1,0,1] neg_lo:[0,0,1] neg_hi:[0,0,1]
	ds_write_b64 v89, v[9:10]
	v_lshlrev_b32_e32 v90, 3, v14
	v_pk_fma_f16 v10, v2, 2.0, v11 op_sel_hi:[1,0,1] neg_lo:[0,0,1] neg_hi:[0,0,1]
	v_pk_fma_f16 v18, v3, 2.0, v19 op_sel_hi:[1,0,1] neg_lo:[0,0,1] neg_hi:[0,0,1]
	v_pk_fma_f16 v0, v0, 2.0, v1 op_sel_hi:[1,0,1] neg_lo:[0,0,1] neg_hi:[0,0,1]
	v_add_u32_e32 v2, 0x1000, v91
	v_lshlrev_b32_e32 v85, 3, v20
	ds_write_b64 v90, v[10:11]
	ds_write2_b64 v2, v[18:19], v[0:1] offset0:118 offset1:244
	s_and_saveexec_b64 s[2:3], s[0:1]
	s_cbranch_execz .LBB0_7
; %bb.6:
	v_pk_fma_f16 v11, v16, 2.0, v12 op_sel_hi:[1,0,1] neg_lo:[0,0,1] neg_hi:[0,0,1]
	ds_write_b64 v85, v[11:12]
.LBB0_7:
	s_or_b64 exec, exec, s[2:3]
	v_and_b32_e32 v13, 1, v82
	v_lshlrev_b32_e32 v0, 3, v13
	s_waitcnt lgkmcnt(0)
	s_barrier
	global_load_dwordx2 v[27:28], v0, s[4:5]
	ds_read2_b32 v[6:7], v69 offset1:126
	v_add_u32_e32 v4, 0x600, v69
	v_add_u32_e32 v5, 0x1200, v69
	;; [unrolled: 1-line block ×6, first 2 shown]
	ds_read_b32 v22, v69 offset:7056
	ds_read2_b32 v[8:9], v4 offset0:120 offset1:246
	ds_read2_b32 v[10:11], v5 offset0:108 offset1:234
	;; [unrolled: 1-line block ×6, first 2 shown]
	s_waitcnt lgkmcnt(5)
	v_lshrrev_b32_e32 v34, 16, v9
	s_waitcnt lgkmcnt(4)
	v_lshrrev_b32_e32 v35, 16, v10
	;; [unrolled: 2-line block ×3, first 2 shown]
	v_lshrrev_b32_e32 v37, 16, v11
	v_lshrrev_b32_e32 v31, 16, v6
	s_movk_i32 s2, 0x3aee
	s_mov_b32 s3, 0xbaee
	v_lshrrev_b32_e32 v39, 16, v17
	s_waitcnt lgkmcnt(1)
	v_lshrrev_b32_e32 v40, 16, v20
	v_lshrrev_b32_e32 v32, 16, v7
	s_waitcnt lgkmcnt(0)
	v_lshrrev_b32_e32 v42, 16, v29
	v_lshrrev_b32_e32 v43, 16, v21
	v_lshrrev_b32_e32 v38, 16, v18
	v_lshrrev_b32_e32 v33, 16, v22
	v_lshrrev_b32_e32 v45, 16, v30
	v_lshrrev_b32_e32 v41, 16, v19
	v_lshrrev_b32_e32 v44, 16, v8
	s_waitcnt vmcnt(0)
	s_barrier
	s_movk_i32 s14, 0xab
                                        ; implicit-def: $vgpr107
                                        ; implicit-def: $vgpr67
                                        ; implicit-def: $vgpr68
                                        ; implicit-def: $vgpr108
                                        ; implicit-def: $vgpr109
	v_mul_f16_sdwa v47, v9, v27 dst_sel:DWORD dst_unused:UNUSED_PAD src0_sel:DWORD src1_sel:WORD_1
	v_mul_f16_sdwa v49, v10, v28 dst_sel:DWORD dst_unused:UNUSED_PAD src0_sel:DWORD src1_sel:WORD_1
	;; [unrolled: 1-line block ×6, first 2 shown]
	v_fma_f16 v34, v34, v27, v47
	v_fma_f16 v35, v35, v28, v49
	v_mul_f16_sdwa v51, v16, v27 dst_sel:DWORD dst_unused:UNUSED_PAD src0_sel:DWORD src1_sel:WORD_1
	v_mul_f16_sdwa v53, v11, v28 dst_sel:DWORD dst_unused:UNUSED_PAD src0_sel:DWORD src1_sel:WORD_1
	v_fma_f16 v10, v10, v28, -v48
	v_fma_f16 v11, v11, v28, -v52
	;; [unrolled: 1-line block ×4, first 2 shown]
	v_sub_f16_e32 v48, v34, v35
	v_add_f16_e32 v49, v31, v34
	v_add_f16_e32 v34, v34, v35
	v_fma_f16 v36, v36, v27, v51
	v_fma_f16 v37, v37, v28, v53
	v_add_f16_e32 v46, v6, v9
	v_add_f16_e32 v47, v9, v10
	v_fma_f16 v31, v34, -0.5, v31
	v_sub_f16_e32 v9, v9, v10
	v_add_f16_e32 v34, v16, v11
	v_mul_f16_sdwa v54, v39, v27 dst_sel:DWORD dst_unused:UNUSED_PAD src0_sel:DWORD src1_sel:WORD_1
	v_mul_f16_sdwa v56, v40, v28 dst_sel:DWORD dst_unused:UNUSED_PAD src0_sel:DWORD src1_sel:WORD_1
	v_add_f16_e32 v46, v46, v10
	v_fma_f16 v6, v47, -0.5, v6
	v_fma_f16 v10, v9, s3, v31
	v_fma_f16 v9, v9, s2, v31
	v_add_f16_e32 v31, v7, v16
	v_fma_f16 v7, v34, -0.5, v7
	v_sub_f16_e32 v34, v36, v37
	v_mul_f16_sdwa v55, v17, v27 dst_sel:DWORD dst_unused:UNUSED_PAD src0_sel:DWORD src1_sel:WORD_1
	v_mul_f16_sdwa v57, v20, v28 dst_sel:DWORD dst_unused:UNUSED_PAD src0_sel:DWORD src1_sel:WORD_1
	v_fma_f16 v17, v17, v27, -v54
	v_fma_f16 v20, v20, v28, -v56
	v_fma_f16 v47, v48, s2, v6
	v_fma_f16 v6, v48, s3, v6
	;; [unrolled: 1-line block ×4, first 2 shown]
	v_add_f16_e32 v34, v32, v36
	v_add_f16_e32 v36, v36, v37
	v_fma_f16 v39, v39, v27, v55
	v_fma_f16 v40, v40, v28, v57
	v_add_f16_e32 v31, v31, v11
	v_fma_f16 v32, v36, -0.5, v32
	v_sub_f16_e32 v11, v16, v11
	v_add_f16_e32 v36, v17, v20
	v_mul_f16_sdwa v58, v42, v27 dst_sel:DWORD dst_unused:UNUSED_PAD src0_sel:DWORD src1_sel:WORD_1
	v_mul_f16_sdwa v61, v43, v28 dst_sel:DWORD dst_unused:UNUSED_PAD src0_sel:DWORD src1_sel:WORD_1
	v_fma_f16 v16, v11, s3, v32
	v_fma_f16 v11, v11, s2, v32
	v_add_f16_e32 v32, v18, v17
	v_fma_f16 v18, v36, -0.5, v18
	v_sub_f16_e32 v36, v39, v40
	v_mul_f16_sdwa v60, v29, v27 dst_sel:DWORD dst_unused:UNUSED_PAD src0_sel:DWORD src1_sel:WORD_1
	v_mul_f16_sdwa v62, v21, v28 dst_sel:DWORD dst_unused:UNUSED_PAD src0_sel:DWORD src1_sel:WORD_1
	v_fma_f16 v29, v29, v27, -v58
	v_fma_f16 v21, v21, v28, -v61
	v_add_f16_e32 v34, v34, v37
	v_fma_f16 v37, v36, s2, v18
	v_fma_f16 v18, v36, s3, v18
	v_add_f16_e32 v36, v38, v39
	v_add_f16_e32 v39, v39, v40
	v_fma_f16 v42, v42, v27, v60
	v_fma_f16 v43, v43, v28, v62
	v_fma_f16 v38, v39, -0.5, v38
	v_sub_f16_e32 v17, v17, v20
	v_add_f16_e32 v39, v29, v21
	v_mul_f16_sdwa v63, v45, v27 dst_sel:DWORD dst_unused:UNUSED_PAD src0_sel:DWORD src1_sel:WORD_1
	v_mul_f16_sdwa v65, v33, v28 dst_sel:DWORD dst_unused:UNUSED_PAD src0_sel:DWORD src1_sel:WORD_1
	v_add_f16_e32 v32, v32, v20
	v_fma_f16 v20, v17, s3, v38
	v_fma_f16 v17, v17, s2, v38
	v_add_f16_e32 v38, v19, v29
	v_fma_f16 v19, v39, -0.5, v19
	v_sub_f16_e32 v39, v42, v43
	v_mul_f16_sdwa v64, v30, v27 dst_sel:DWORD dst_unused:UNUSED_PAD src0_sel:DWORD src1_sel:WORD_1
	v_mul_f16_sdwa v66, v22, v28 dst_sel:DWORD dst_unused:UNUSED_PAD src0_sel:DWORD src1_sel:WORD_1
	v_fma_f16 v30, v30, v27, -v63
	v_fma_f16 v22, v22, v28, -v65
	v_add_f16_e32 v36, v36, v40
	v_fma_f16 v40, v39, s2, v19
	v_fma_f16 v19, v39, s3, v19
	v_add_f16_e32 v39, v41, v42
	v_add_f16_e32 v42, v42, v43
	v_fma_f16 v45, v45, v27, v64
	v_fma_f16 v33, v33, v28, v66
	v_add_f16_e32 v38, v38, v21
	v_fma_f16 v41, v42, -0.5, v41
	v_sub_f16_e32 v21, v29, v21
	v_add_f16_e32 v42, v30, v22
	v_fma_f16 v29, v21, s3, v41
	v_fma_f16 v21, v21, s2, v41
	v_add_f16_e32 v41, v8, v30
	v_fma_f16 v8, v42, -0.5, v8
	v_sub_f16_e32 v42, v45, v33
	v_add_f16_e32 v39, v39, v43
	v_fma_f16 v43, v42, s2, v8
	v_fma_f16 v8, v42, s3, v8
	v_add_f16_e32 v42, v44, v45
	v_add_f16_e32 v42, v42, v33
	;; [unrolled: 1-line block ×4, first 2 shown]
	v_fma_f16 v33, v33, -0.5, v44
	v_sub_f16_e32 v22, v30, v22
	v_fma_f16 v30, v22, s3, v33
	v_fma_f16 v22, v22, s2, v33
	v_lshrrev_b32_e32 v33, 1, v82
	v_mul_u32_u24_e32 v33, 6, v33
	v_or_b32_e32 v33, v33, v13
	v_lshlrev_b32_e32 v92, 2, v33
	v_pack_b32_f16 v6, v6, v9
	ds_write_b32 v92, v6 offset:16
	v_lshrrev_b32_e32 v6, 1, v59
	v_mul_u32_u24_e32 v6, 6, v6
	v_add_f16_e32 v35, v49, v35
	v_or_b32_e32 v6, v6, v13
	v_pack_b32_f16 v33, v46, v35
	v_pack_b32_f16 v10, v47, v10
	v_lshlrev_b32_e32 v93, 2, v6
	v_pack_b32_f16 v6, v31, v34
	v_pack_b32_f16 v9, v48, v16
	ds_write2_b32 v92, v33, v10 offset1:2
	ds_write2_b32 v93, v6, v9 offset1:2
	v_pack_b32_f16 v6, v7, v11
	ds_write_b32 v93, v6 offset:16
	v_lshrrev_b32_e32 v6, 1, v23
	v_mul_u32_u24_e32 v6, 6, v6
	v_or_b32_e32 v6, v6, v13
	v_lshlrev_b32_e32 v94, 2, v6
	v_pack_b32_f16 v6, v32, v36
	v_pack_b32_f16 v7, v37, v20
	ds_write2_b32 v94, v6, v7 offset1:2
	v_pack_b32_f16 v6, v18, v17
	ds_write_b32 v94, v6 offset:16
	v_lshrrev_b32_e32 v6, 1, v15
	v_mul_u32_u24_e32 v6, 6, v6
	v_or_b32_e32 v6, v6, v13
	v_lshlrev_b32_e32 v95, 2, v6
	v_pack_b32_f16 v6, v38, v39
	v_pack_b32_f16 v7, v40, v29
	;; [unrolled: 9-line block ×3, first 2 shown]
	ds_write2_b32 v96, v6, v7 offset1:2
	v_pack_b32_f16 v6, v8, v22
	ds_write_b32 v96, v6 offset:16
	v_mul_lo_u16_sdwa v6, v82, s14 dst_sel:DWORD dst_unused:UNUSED_PAD src0_sel:BYTE_0 src1_sel:DWORD
	v_lshrrev_b16_e32 v13, 10, v6
	v_mul_lo_u16_e32 v6, 6, v13
	v_sub_u16_e32 v6, v82, v6
	v_and_b32_e32 v22, 0xff, v6
	v_lshlrev_b32_e32 v6, 3, v22
	s_waitcnt lgkmcnt(0)
	s_barrier
	global_load_dwordx2 v[29:30], v6, s[4:5] offset:16
	v_mul_lo_u16_sdwa v6, v59, s14 dst_sel:DWORD dst_unused:UNUSED_PAD src0_sel:BYTE_0 src1_sel:DWORD
	v_lshrrev_b16_e32 v39, 10, v6
	v_mul_lo_u16_e32 v6, 6, v39
	v_sub_u16_e32 v6, v59, v6
	v_and_b32_e32 v40, 0xff, v6
	v_lshlrev_b32_e32 v6, 3, v40
	s_mov_b32 s14, 0xaaab
	global_load_dwordx2 v[31:32], v6, s[4:5] offset:16
	v_mul_u32_u24_sdwa v6, v23, s14 dst_sel:DWORD dst_unused:UNUSED_PAD src0_sel:WORD_0 src1_sel:DWORD
	v_lshrrev_b32_e32 v41, 18, v6
	v_mul_lo_u16_e32 v6, 6, v41
	v_sub_u16_e32 v42, v23, v6
	v_lshlrev_b16_e32 v6, 3, v42
	v_mov_b32_e32 v43, s5
	v_add_co_u32_e32 v6, vcc, s4, v6
	v_addc_co_u32_e32 v7, vcc, 0, v43, vcc
	global_load_dwordx2 v[33:34], v[6:7], off offset:16
	v_mul_u32_u24_sdwa v6, v15, s14 dst_sel:DWORD dst_unused:UNUSED_PAD src0_sel:WORD_0 src1_sel:DWORD
	v_lshrrev_b32_e32 v44, 18, v6
	v_mul_lo_u16_e32 v6, 6, v44
	v_sub_u16_e32 v45, v15, v6
	v_lshlrev_b16_e32 v6, 3, v45
	v_add_co_u32_e32 v6, vcc, s4, v6
	v_addc_co_u32_e32 v7, vcc, 0, v43, vcc
	global_load_dwordx2 v[35:36], v[6:7], off offset:16
	v_mul_u32_u24_sdwa v6, v14, s14 dst_sel:DWORD dst_unused:UNUSED_PAD src0_sel:WORD_0 src1_sel:DWORD
	v_lshrrev_b32_e32 v46, 18, v6
	v_mul_lo_u16_e32 v6, 6, v46
	v_sub_u16_e32 v47, v14, v6
	v_lshlrev_b16_e32 v6, 3, v47
	v_add_co_u32_e32 v6, vcc, s4, v6
	v_addc_co_u32_e32 v7, vcc, 0, v43, vcc
	global_load_dwordx2 v[37:38], v[6:7], off offset:16
	ds_read2_b32 v[6:7], v69 offset1:126
	ds_read2_b32 v[8:9], v4 offset0:120 offset1:246
	ds_read2_b32 v[10:11], v5 offset0:108 offset1:234
	v_mul_u32_u24_e32 v13, 18, v13
	v_add_lshl_u32 v97, v13, v22, 2
	s_waitcnt lgkmcnt(2)
	v_lshrrev_b32_e32 v48, 16, v6
	s_waitcnt lgkmcnt(1)
	v_lshrrev_b32_e32 v49, 16, v9
	;; [unrolled: 2-line block ×3, first 2 shown]
	ds_read2_b32 v[16:17], v1 offset0:116 offset1:242
	ds_read2_b32 v[18:19], v0 offset0:124 offset1:250
	;; [unrolled: 1-line block ×3, first 2 shown]
	s_mov_b32 s14, 0xe38f
                                        ; implicit-def: $vgpr64
                                        ; implicit-def: $vgpr65
                                        ; implicit-def: $vgpr66
	s_waitcnt vmcnt(4)
	v_mul_f16_sdwa v51, v49, v29 dst_sel:DWORD dst_unused:UNUSED_PAD src0_sel:DWORD src1_sel:WORD_1
	v_fma_f16 v51, v9, v29, -v51
	v_mul_f16_sdwa v9, v9, v29 dst_sel:DWORD dst_unused:UNUSED_PAD src0_sel:DWORD src1_sel:WORD_1
	v_fma_f16 v9, v49, v29, v9
	v_mul_f16_sdwa v49, v50, v30 dst_sel:DWORD dst_unused:UNUSED_PAD src0_sel:DWORD src1_sel:WORD_1
	v_fma_f16 v49, v10, v30, -v49
	v_mul_f16_sdwa v10, v10, v30 dst_sel:DWORD dst_unused:UNUSED_PAD src0_sel:DWORD src1_sel:WORD_1
	v_fma_f16 v10, v50, v30, v10
	v_add_f16_e32 v50, v6, v51
	v_sub_f16_e32 v52, v9, v10
	v_add_f16_e32 v53, v48, v9
	v_add_f16_e32 v9, v9, v10
	;; [unrolled: 1-line block ×5, first 2 shown]
	v_fma_f16 v48, v9, -0.5, v48
	v_sub_f16_e32 v49, v51, v49
	v_fma_f16 v6, v54, -0.5, v6
	v_fma_f16 v13, v52, s2, v6
	v_pack_b32_f16 v22, v50, v53
	v_fma_f16 v50, v49, s3, v48
	v_pack_b32_f16 v13, v13, v50
	ds_read2_b32 v[9:10], v2 offset0:112 offset1:238
	ds_read_b32 v50, v69 offset:7056
	s_waitcnt vmcnt(0) lgkmcnt(0)
	s_barrier
	ds_write2_b32 v97, v22, v13 offset1:6
	v_lshrrev_b32_e32 v13, 16, v11
	v_mul_f16_sdwa v22, v13, v32 dst_sel:DWORD dst_unused:UNUSED_PAD src0_sel:DWORD src1_sel:WORD_1
	v_fma_f16 v22, v11, v32, -v22
	v_mul_f16_sdwa v11, v11, v32 dst_sel:DWORD dst_unused:UNUSED_PAD src0_sel:DWORD src1_sel:WORD_1
	v_lshrrev_b32_e32 v51, 16, v16
	v_fma_f16 v11, v13, v32, v11
	v_mul_f16_sdwa v13, v16, v31 dst_sel:DWORD dst_unused:UNUSED_PAD src0_sel:DWORD src1_sel:WORD_1
	v_fma_f16 v13, v51, v31, v13
	v_mul_f16_sdwa v51, v51, v31 dst_sel:DWORD dst_unused:UNUSED_PAD src0_sel:DWORD src1_sel:WORD_1
	v_fma_f16 v16, v16, v31, -v51
	v_lshrrev_b32_e32 v51, 16, v17
	v_mul_f16_sdwa v53, v51, v33 dst_sel:DWORD dst_unused:UNUSED_PAD src0_sel:DWORD src1_sel:WORD_1
	v_fma_f16 v53, v17, v33, -v53
	v_mul_f16_sdwa v17, v17, v33 dst_sel:DWORD dst_unused:UNUSED_PAD src0_sel:DWORD src1_sel:WORD_1
	v_fma_f16 v17, v51, v33, v17
	v_lshrrev_b32_e32 v51, 16, v20
	v_mul_f16_sdwa v54, v20, v34 dst_sel:DWORD dst_unused:UNUSED_PAD src0_sel:DWORD src1_sel:WORD_1
	v_fma_f16 v54, v51, v34, v54
	v_mul_f16_sdwa v51, v51, v34 dst_sel:DWORD dst_unused:UNUSED_PAD src0_sel:DWORD src1_sel:WORD_1
	v_fma_f16 v20, v20, v34, -v51
	v_lshrrev_b32_e32 v51, 16, v21
	v_mul_f16_sdwa v55, v51, v36 dst_sel:DWORD dst_unused:UNUSED_PAD src0_sel:DWORD src1_sel:WORD_1
	v_fma_f16 v55, v21, v36, -v55
	v_mul_f16_sdwa v21, v21, v36 dst_sel:DWORD dst_unused:UNUSED_PAD src0_sel:DWORD src1_sel:WORD_1
	v_fma_f16 v21, v51, v36, v21
	v_lshrrev_b32_e32 v51, 16, v9
	;; [unrolled: 10-line block ×3, first 2 shown]
	v_mul_f16_sdwa v58, v51, v38 dst_sel:DWORD dst_unused:UNUSED_PAD src0_sel:DWORD src1_sel:WORD_1
	v_fma_f16 v58, v50, v38, -v58
	v_mul_f16_sdwa v50, v50, v38 dst_sel:DWORD dst_unused:UNUSED_PAD src0_sel:DWORD src1_sel:WORD_1
	v_fma_f16 v48, v49, s2, v48
	v_add_f16_e32 v49, v16, v22
	v_fma_f16 v50, v51, v38, v50
	v_fma_f16 v6, v52, s3, v6
	v_fma_f16 v49, v49, -0.5, v7
	v_lshrrev_b32_e32 v51, 16, v7
	v_sub_f16_e32 v52, v13, v11
	v_fma_f16 v60, v52, s2, v49
	v_fma_f16 v49, v52, s3, v49
	v_add_f16_e32 v52, v51, v13
	v_add_f16_e32 v52, v52, v11
	;; [unrolled: 1-line block ×3, first 2 shown]
	v_fma_f16 v11, v11, -0.5, v51
	v_sub_f16_e32 v13, v16, v22
	v_add_f16_e32 v7, v7, v16
	v_fma_f16 v16, v13, s3, v11
	v_fma_f16 v11, v13, s2, v11
	v_add_f16_e32 v13, v53, v20
	v_add_f16_e32 v7, v7, v22
	v_fma_f16 v13, v13, -0.5, v18
	v_sub_f16_e32 v22, v17, v54
	v_fma_f16 v51, v22, s2, v13
	v_fma_f16 v13, v22, s3, v13
	v_lshrrev_b32_e32 v22, 16, v18
	v_add_f16_e32 v61, v22, v17
	v_add_f16_e32 v17, v17, v54
	;; [unrolled: 1-line block ×3, first 2 shown]
	v_fma_f16 v17, v17, -0.5, v22
	v_add_f16_e32 v18, v18, v20
	v_sub_f16_e32 v20, v53, v20
	v_pack_b32_f16 v6, v6, v48
	v_fma_f16 v22, v20, s3, v17
	v_fma_f16 v17, v20, s2, v17
	v_add_f16_e32 v20, v9, v55
	ds_write_b32 v97, v6 offset:48
	v_mul_u32_u24_e32 v6, 18, v39
	v_add_f16_e32 v61, v61, v54
	v_fma_f16 v20, v20, -0.5, v19
	v_lshrrev_b32_e32 v53, 16, v19
	v_sub_f16_e32 v54, v56, v21
	v_add_lshl_u32 v98, v6, v40, 2
	v_pack_b32_f16 v6, v7, v52
	v_pack_b32_f16 v7, v60, v16
	v_fma_f16 v62, v54, s2, v20
	v_fma_f16 v20, v54, s3, v20
	v_add_f16_e32 v54, v53, v56
	ds_write2_b32 v98, v6, v7 offset1:6
	v_pack_b32_f16 v6, v49, v11
	v_add_f16_e32 v54, v54, v21
	v_add_f16_e32 v21, v56, v21
	ds_write_b32 v98, v6 offset:48
	v_mad_legacy_u16 v6, v41, 18, v42
	v_add_f16_e32 v19, v19, v9
	v_fma_f16 v21, v21, -0.5, v53
	v_sub_f16_e32 v9, v9, v55
	v_lshlrev_b32_e32 v99, 2, v6
	v_pack_b32_f16 v6, v18, v61
	v_pack_b32_f16 v7, v51, v22
	v_fma_f16 v53, v9, s3, v21
	v_fma_f16 v9, v9, s2, v21
	v_add_f16_e32 v21, v57, v58
	ds_write2_b32 v99, v6, v7 offset1:6
	v_pack_b32_f16 v6, v13, v17
	v_add_f16_e32 v19, v19, v55
	v_fma_f16 v21, v21, -0.5, v8
	v_lshrrev_b32_e32 v55, 16, v8
	v_sub_f16_e32 v56, v10, v50
	ds_write_b32 v99, v6 offset:48
	v_mad_legacy_u16 v6, v44, 18, v45
	v_fma_f16 v63, v56, s2, v21
	v_fma_f16 v21, v56, s3, v21
	v_add_f16_e32 v56, v55, v10
	v_add_f16_e32 v10, v10, v50
	v_lshlrev_b32_e32 v100, 2, v6
	v_pack_b32_f16 v6, v19, v54
	v_pack_b32_f16 v7, v62, v53
	v_add_f16_e32 v8, v8, v57
	v_add_f16_e32 v56, v56, v50
	v_fma_f16 v10, v10, -0.5, v55
	v_sub_f16_e32 v50, v57, v58
	ds_write2_b32 v100, v6, v7 offset1:6
	v_pack_b32_f16 v6, v20, v9
	v_add_f16_e32 v8, v8, v58
	v_fma_f16 v55, v50, s3, v10
	ds_write_b32 v100, v6 offset:48
	v_mad_legacy_u16 v6, v46, 18, v47
	v_fma_f16 v10, v50, s2, v10
	v_lshlrev_b32_e32 v101, 2, v6
	v_pack_b32_f16 v6, v8, v56
	v_pack_b32_f16 v7, v63, v55
	ds_write2_b32 v101, v6, v7 offset1:6
	v_pack_b32_f16 v6, v21, v10
	ds_write_b32 v101, v6 offset:48
	v_mov_b32_e32 v6, 57
	v_mul_lo_u16_sdwa v7, v82, v6 dst_sel:DWORD dst_unused:UNUSED_PAD src0_sel:BYTE_0 src1_sel:DWORD
	v_lshrrev_b16_e32 v13, 10, v7
	v_mul_lo_u16_e32 v7, 18, v13
	v_sub_u16_e32 v7, v82, v7
	v_and_b32_e32 v16, 0xff, v7
	v_lshlrev_b32_e32 v7, 3, v16
	s_waitcnt lgkmcnt(0)
	s_barrier
	global_load_dwordx2 v[39:40], v7, s[4:5] offset:64
	v_mul_lo_u16_sdwa v6, v59, v6 dst_sel:DWORD dst_unused:UNUSED_PAD src0_sel:BYTE_0 src1_sel:DWORD
	v_lshrrev_b16_e32 v17, 10, v6
	v_mul_lo_u16_e32 v6, 18, v17
	v_sub_u16_e32 v6, v59, v6
	v_and_b32_e32 v18, 0xff, v6
	v_lshlrev_b32_e32 v6, 3, v18
	global_load_dwordx2 v[41:42], v6, s[4:5] offset:64
	v_mul_u32_u24_sdwa v10, v23, s14 dst_sel:DWORD dst_unused:UNUSED_PAD src0_sel:WORD_0 src1_sel:DWORD
	v_lshrrev_b32_e32 v21, 20, v10
	v_mul_lo_u16_e32 v10, 18, v21
	v_mul_u32_u24_sdwa v44, v15, s14 dst_sel:DWORD dst_unused:UNUSED_PAD src0_sel:WORD_0 src1_sel:DWORD
	v_sub_u16_e32 v22, v23, v10
	v_lshrrev_b32_e32 v44, 20, v44
	v_lshlrev_b16_e32 v10, 3, v22
	v_mul_lo_u16_e32 v45, 18, v44
	v_add_co_u32_e32 v10, vcc, s4, v10
	v_sub_u16_e32 v15, v15, v45
	ds_read2_b32 v[6:7], v4 offset0:120 offset1:246
	ds_read2_b32 v[4:5], v5 offset0:108 offset1:234
	ds_read2_b32 v[8:9], v69 offset1:126
	v_addc_co_u32_e32 v11, vcc, 0, v43, vcc
	v_lshlrev_b16_e32 v45, 3, v15
	global_load_dwordx2 v[47:48], v[10:11], off offset:64
	v_add_co_u32_e32 v10, vcc, s4, v45
	v_addc_co_u32_e32 v11, vcc, 0, v43, vcc
	s_waitcnt lgkmcnt(2)
	v_lshrrev_b32_e32 v19, 16, v7
	global_load_dwordx2 v[45:46], v[10:11], off offset:64
	s_waitcnt lgkmcnt(1)
	v_lshrrev_b32_e32 v20, 16, v4
	s_waitcnt lgkmcnt(0)
	v_lshrrev_b32_e32 v53, 16, v8
                                        ; implicit-def: $vgpr62
                                        ; implicit-def: $vgpr63
	s_waitcnt vmcnt(3)
	v_mul_f16_sdwa v10, v7, v39 dst_sel:DWORD dst_unused:UNUSED_PAD src0_sel:DWORD src1_sel:WORD_1
	v_fma_f16 v51, v19, v39, v10
	v_mul_u32_u24_sdwa v10, v14, s14 dst_sel:DWORD dst_unused:UNUSED_PAD src0_sel:WORD_0 src1_sel:DWORD
	v_lshrrev_b32_e32 v52, 20, v10
	v_mul_lo_u16_e32 v10, 18, v52
	v_sub_u16_e32 v14, v14, v10
	v_lshlrev_b16_e32 v10, 3, v14
	v_add_co_u32_e32 v10, vcc, s4, v10
	v_addc_co_u32_e32 v11, vcc, 0, v43, vcc
	v_mul_f16_sdwa v43, v4, v40 dst_sel:DWORD dst_unused:UNUSED_PAD src0_sel:DWORD src1_sel:WORD_1
	v_fma_f16 v43, v20, v40, v43
	v_add_f16_e32 v49, v53, v51
	v_add_f16_e32 v54, v49, v43
	global_load_dwordx2 v[49:50], v[10:11], off offset:64
	v_add_f16_e32 v10, v51, v43
	v_sub_f16_e32 v55, v51, v43
	v_fma_f16 v43, v10, -0.5, v53
	v_mul_f16_sdwa v10, v19, v39 dst_sel:DWORD dst_unused:UNUSED_PAD src0_sel:DWORD src1_sel:WORD_1
	v_fma_f16 v7, v7, v39, -v10
	v_mul_f16_sdwa v10, v20, v40 dst_sel:DWORD dst_unused:UNUSED_PAD src0_sel:DWORD src1_sel:WORD_1
	v_fma_f16 v4, v4, v40, -v10
	v_add_f16_e32 v10, v8, v7
	v_add_f16_e32 v10, v10, v4
	;; [unrolled: 1-line block ×3, first 2 shown]
	v_sub_f16_e32 v19, v7, v4
	v_mul_u32_u24_e32 v4, 54, v13
	v_add_lshl_u32 v102, v4, v16, 2
	v_fma_f16 v16, v11, -0.5, v8
	v_fma_f16 v4, v55, s2, v16
	v_fma_f16 v7, v19, s3, v43
	v_pack_b32_f16 v13, v10, v54
	v_pack_b32_f16 v20, v4, v7
	ds_read2_b32 v[7:8], v1 offset0:116 offset1:242
	ds_read2_b32 v[0:1], v0 offset0:124 offset1:250
	;; [unrolled: 1-line block ×4, first 2 shown]
	ds_read_b32 v2, v69 offset:7056
	s_waitcnt vmcnt(0) lgkmcnt(0)
	s_barrier
	ds_write2_b32 v102, v13, v20 offset1:18
	v_lshrrev_b32_e32 v13, 16, v5
	v_mul_f16_sdwa v20, v13, v42 dst_sel:DWORD dst_unused:UNUSED_PAD src0_sel:DWORD src1_sel:WORD_1
	v_fma_f16 v20, v5, v42, -v20
	v_mul_f16_sdwa v5, v5, v42 dst_sel:DWORD dst_unused:UNUSED_PAD src0_sel:DWORD src1_sel:WORD_1
	v_fma_f16 v5, v13, v42, v5
	v_fma_f16 v13, v55, s3, v16
	;; [unrolled: 1-line block ×3, first 2 shown]
	v_lshrrev_b32_e32 v19, 16, v7
	v_mul_f16_sdwa v43, v7, v41 dst_sel:DWORD dst_unused:UNUSED_PAD src0_sel:DWORD src1_sel:WORD_1
	v_fma_f16 v43, v19, v41, v43
	v_mul_f16_sdwa v19, v19, v41 dst_sel:DWORD dst_unused:UNUSED_PAD src0_sel:DWORD src1_sel:WORD_1
	v_lshrrev_b32_e32 v51, 16, v9
	v_fma_f16 v7, v7, v41, -v19
	v_add_f16_e32 v53, v51, v43
	v_add_f16_e32 v19, v7, v20
	;; [unrolled: 1-line block ×3, first 2 shown]
	v_sub_f16_e32 v54, v43, v5
	v_add_f16_e32 v5, v43, v5
	v_pack_b32_f16 v13, v13, v16
	v_fma_f16 v19, v19, -0.5, v9
	v_add_f16_e32 v9, v9, v7
	v_fma_f16 v5, v5, -0.5, v51
	v_sub_f16_e32 v7, v7, v20
	ds_write_b32 v102, v13 offset:144
	v_mul_u32_u24_e32 v13, 54, v17
	v_add_f16_e32 v9, v9, v20
	v_add_lshl_u32 v103, v13, v18, 2
	v_fma_f16 v13, v54, s2, v19
	v_fma_f16 v16, v7, s3, v5
	v_pack_b32_f16 v9, v9, v53
	v_pack_b32_f16 v13, v13, v16
	ds_write2_b32 v103, v9, v13 offset1:18
	v_lshrrev_b32_e32 v9, 16, v8
	v_mul_f16_sdwa v13, v9, v47 dst_sel:DWORD dst_unused:UNUSED_PAD src0_sel:DWORD src1_sel:WORD_1
	v_fma_f16 v13, v8, v47, -v13
	v_mul_f16_sdwa v8, v8, v47 dst_sel:DWORD dst_unused:UNUSED_PAD src0_sel:DWORD src1_sel:WORD_1
	v_fma_f16 v8, v9, v47, v8
	v_lshrrev_b32_e32 v9, 16, v3
	v_mul_f16_sdwa v16, v3, v48 dst_sel:DWORD dst_unused:UNUSED_PAD src0_sel:DWORD src1_sel:WORD_1
	v_fma_f16 v16, v9, v48, v16
	v_mul_f16_sdwa v9, v9, v48 dst_sel:DWORD dst_unused:UNUSED_PAD src0_sel:DWORD src1_sel:WORD_1
	v_fma_f16 v3, v3, v48, -v9
	v_lshrrev_b32_e32 v9, 16, v4
	v_mul_f16_sdwa v17, v9, v46 dst_sel:DWORD dst_unused:UNUSED_PAD src0_sel:DWORD src1_sel:WORD_1
	v_fma_f16 v17, v4, v46, -v17
	v_mul_f16_sdwa v4, v4, v46 dst_sel:DWORD dst_unused:UNUSED_PAD src0_sel:DWORD src1_sel:WORD_1
	v_fma_f16 v4, v9, v46, v4
	v_lshrrev_b32_e32 v9, 16, v10
	v_mul_f16_sdwa v18, v10, v45 dst_sel:DWORD dst_unused:UNUSED_PAD src0_sel:DWORD src1_sel:WORD_1
	v_fma_f16 v18, v9, v45, v18
	v_mul_f16_sdwa v9, v9, v45 dst_sel:DWORD dst_unused:UNUSED_PAD src0_sel:DWORD src1_sel:WORD_1
	v_fma_f16 v9, v10, v45, -v9
	v_lshrrev_b32_e32 v10, 16, v11
	v_fma_f16 v5, v7, s2, v5
	v_add_f16_e32 v7, v13, v3
	v_fma_f16 v7, v7, -0.5, v0
	v_mul_f16_sdwa v20, v10, v49 dst_sel:DWORD dst_unused:UNUSED_PAD src0_sel:DWORD src1_sel:WORD_1
	v_fma_f16 v20, v11, v49, -v20
	v_mul_f16_sdwa v11, v11, v49 dst_sel:DWORD dst_unused:UNUSED_PAD src0_sel:DWORD src1_sel:WORD_1
	v_fma_f16 v10, v10, v49, v11
	v_lshrrev_b32_e32 v11, 16, v2
	v_mul_f16_sdwa v43, v11, v50 dst_sel:DWORD dst_unused:UNUSED_PAD src0_sel:DWORD src1_sel:WORD_1
	v_fma_f16 v43, v2, v50, -v43
	v_mul_f16_sdwa v2, v2, v50 dst_sel:DWORD dst_unused:UNUSED_PAD src0_sel:DWORD src1_sel:WORD_1
	v_fma_f16 v2, v11, v50, v2
	v_fma_f16 v11, v54, s3, v19
	v_sub_f16_e32 v19, v8, v16
	v_fma_f16 v51, v19, s2, v7
	v_fma_f16 v7, v19, s3, v7
	v_lshrrev_b32_e32 v19, 16, v0
	v_add_f16_e32 v53, v19, v8
	v_add_f16_e32 v8, v8, v16
	;; [unrolled: 1-line block ×3, first 2 shown]
	v_fma_f16 v8, v8, -0.5, v19
	v_add_f16_e32 v0, v0, v3
	v_sub_f16_e32 v3, v13, v3
	v_fma_f16 v13, v3, s3, v8
	v_fma_f16 v3, v3, s2, v8
	v_add_f16_e32 v8, v9, v17
	v_add_f16_e32 v53, v53, v16
	v_fma_f16 v8, v8, -0.5, v1
	v_lshrrev_b32_e32 v16, 16, v1
	v_sub_f16_e32 v19, v18, v4
	v_fma_f16 v54, v19, s2, v8
	v_fma_f16 v8, v19, s3, v8
	v_add_f16_e32 v19, v16, v18
	v_add_f16_e32 v19, v19, v4
	;; [unrolled: 1-line block ×4, first 2 shown]
	v_fma_f16 v4, v4, -0.5, v16
	v_sub_f16_e32 v9, v9, v17
	v_fma_f16 v16, v9, s3, v4
	v_fma_f16 v4, v9, s2, v4
	v_add_f16_e32 v9, v20, v43
	v_add_f16_e32 v1, v1, v17
	v_fma_f16 v9, v9, -0.5, v6
	v_lshrrev_b32_e32 v17, 16, v6
	v_sub_f16_e32 v18, v10, v2
	v_fma_f16 v55, v18, s2, v9
	v_fma_f16 v60, v18, s3, v9
	v_add_f16_e32 v9, v17, v10
	v_add_f16_e32 v9, v9, v2
	;; [unrolled: 1-line block ×3, first 2 shown]
	v_fma_f16 v2, v2, -0.5, v17
	v_sub_f16_e32 v10, v20, v43
	v_fma_f16 v17, v10, s3, v2
	v_fma_f16 v61, v10, s2, v2
	v_pack_b32_f16 v2, v11, v5
	ds_write_b32 v103, v2 offset:144
	v_mad_legacy_u16 v2, v21, 54, v22
	v_pack_b32_f16 v0, v0, v53
	v_lshlrev_b32_e32 v104, 2, v2
	v_pack_b32_f16 v2, v51, v13
	ds_write2_b32 v104, v0, v2 offset1:18
	v_pack_b32_f16 v0, v7, v3
	ds_write_b32 v104, v0 offset:144
	v_mad_legacy_u16 v0, v44, 54, v15
	v_lshlrev_b32_e32 v105, 2, v0
	v_pack_b32_f16 v0, v1, v19
	v_pack_b32_f16 v1, v54, v16
	v_add_f16_e32 v6, v6, v20
	ds_write2_b32 v105, v0, v1 offset1:18
	v_pack_b32_f16 v0, v8, v4
	v_add_f16_e32 v6, v6, v43
	ds_write_b32 v105, v0 offset:144
	v_mad_legacy_u16 v0, v52, 54, v14
	v_lshlrev_b32_e32 v106, 2, v0
	v_pack_b32_f16 v0, v6, v9
	v_pack_b32_f16 v1, v55, v17
	ds_write2_b32 v106, v0, v1 offset1:18
	v_pack_b32_f16 v0, v60, v61
	ds_write_b32 v106, v0 offset:144
	v_add_u32_e32 v0, 0x400, v69
	s_waitcnt lgkmcnt(0)
	s_barrier
	ds_read2_b32 v[15:16], v0 offset0:14 offset1:140
	v_add_u32_e32 v0, 0x800, v69
	ds_read2_b32 v[17:18], v0 offset0:28 offset1:154
	v_add_u32_e32 v0, 0xc00, v69
	;; [unrolled: 2-line block ×5, first 2 shown]
	ds_read2_b32 v[57:58], v0 offset0:84 offset1:210
	ds_read2_b32 v[13:14], v69 offset1:126
	v_cmp_gt_u16_e64 s[2:3], 18, v82
	s_and_saveexec_b64 s[14:15], s[2:3]
	s_cbranch_execz .LBB0_9
; %bb.8:
	ds_read_b32 v60, v69 offset:1008
	ds_read_b32 v12, v69 offset:2088
	;; [unrolled: 1-line block ×7, first 2 shown]
	s_waitcnt lgkmcnt(6)
	v_lshrrev_b32_e32 v61, 16, v60
	s_waitcnt lgkmcnt(4)
	v_lshrrev_b32_e32 v109, 16, v66
	;; [unrolled: 2-line block ×6, first 2 shown]
.LBB0_9:
	s_or_b64 exec, exec, s[14:15]
	v_mov_b32_e32 v2, 19
	v_mul_lo_u16_sdwa v0, v82, v2 dst_sel:DWORD dst_unused:UNUSED_PAD src0_sel:BYTE_0 src1_sel:DWORD
	v_lshrrev_b16_e32 v118, 10, v0
	v_mul_lo_u16_sdwa v2, v59, v2 dst_sel:DWORD dst_unused:UNUSED_PAD src0_sel:BYTE_0 src1_sel:DWORD
	v_mul_lo_u16_e32 v0, 54, v118
	v_lshrrev_b16_e32 v122, 10, v2
	v_sub_u16_e32 v0, v82, v0
	v_mul_lo_u16_e32 v2, 54, v122
	v_and_b32_e32 v119, 0xff, v0
	v_sub_u16_e32 v2, v59, v2
	v_mad_u64_u32 v[0:1], s[14:15], v119, 24, s[4:5]
	v_and_b32_e32 v123, 0xff, v2
	v_mad_u64_u32 v[2:3], s[14:15], v123, 24, s[4:5]
	global_load_dwordx4 v[4:7], v[0:1], off offset:208
	global_load_dwordx2 v[53:54], v[0:1], off offset:224
	global_load_dwordx4 v[8:11], v[2:3], off offset:208
	global_load_dwordx2 v[51:52], v[2:3], off offset:224
	v_lshrrev_b16_e32 v0, 1, v23
	v_mul_u32_u24_e32 v0, 0x97b5, v0
	v_lshrrev_b32_e32 v0, 20, v0
	v_mul_lo_u16_e32 v0, 54, v0
	v_sub_u16_e32 v124, v23, v0
	v_mul_lo_u16_e32 v0, 24, v124
	v_mov_b32_e32 v1, s5
	v_add_co_u32_e32 v110, vcc, s4, v0
	v_addc_co_u32_e32 v111, vcc, 0, v1, vcc
	global_load_dwordx4 v[0:3], v[110:111], off offset:208
	global_load_dwordx2 v[43:44], v[110:111], off offset:224
	s_waitcnt lgkmcnt(6)
	v_lshrrev_b32_e32 v110, 16, v15
	s_waitcnt lgkmcnt(5)
	v_lshrrev_b32_e32 v111, 16, v17
	;; [unrolled: 2-line block ×4, first 2 shown]
	v_lshrrev_b32_e32 v112, 16, v19
	v_lshrrev_b32_e32 v113, 16, v21
	;; [unrolled: 1-line block ×6, first 2 shown]
	s_movk_i32 s14, 0x2b26
	s_movk_i32 s15, 0x3b00
	s_mov_b32 s16, 0xbcab
	s_movk_i32 s18, 0x39e0
	s_mov_b32 s19, 0xb9e0
	;; [unrolled: 2-line block ×3, first 2 shown]
	v_lshrrev_b32_e32 v120, 16, v20
	v_lshrrev_b32_e32 v121, 16, v22
	s_movk_i32 s22, 0x370e
	s_waitcnt vmcnt(0) lgkmcnt(0)
	s_barrier
	v_mul_f16_sdwa v135, v114, v53 dst_sel:DWORD dst_unused:UNUSED_PAD src0_sel:DWORD src1_sel:WORD_1
	v_mul_f16_sdwa v127, v110, v4 dst_sel:DWORD dst_unused:UNUSED_PAD src0_sel:DWORD src1_sel:WORD_1
	v_mul_f16_sdwa v128, v15, v4 dst_sel:DWORD dst_unused:UNUSED_PAD src0_sel:DWORD src1_sel:WORD_1
	v_fma_f16 v15, v15, v4, -v127
	v_lshrrev_b32_e32 v127, 16, v12
	v_fma_f16 v110, v110, v4, v128
	v_mul_f16_sdwa v129, v111, v5 dst_sel:DWORD dst_unused:UNUSED_PAD src0_sel:DWORD src1_sel:WORD_1
	v_mul_f16_sdwa v130, v17, v5 dst_sel:DWORD dst_unused:UNUSED_PAD src0_sel:DWORD src1_sel:WORD_1
	v_mul_f16_sdwa v136, v55, v53 dst_sel:DWORD dst_unused:UNUSED_PAD src0_sel:DWORD src1_sel:WORD_1
	v_mul_f16_sdwa v137, v115, v54 dst_sel:DWORD dst_unused:UNUSED_PAD src0_sel:DWORD src1_sel:WORD_1
	v_mul_f16_sdwa v138, v57, v54 dst_sel:DWORD dst_unused:UNUSED_PAD src0_sel:DWORD src1_sel:WORD_1
	v_mul_f16_sdwa v131, v112, v6 dst_sel:DWORD dst_unused:UNUSED_PAD src0_sel:DWORD src1_sel:WORD_1
	v_mul_f16_sdwa v132, v19, v6 dst_sel:DWORD dst_unused:UNUSED_PAD src0_sel:DWORD src1_sel:WORD_1
	v_mul_f16_sdwa v128, v127, v0 dst_sel:DWORD dst_unused:UNUSED_PAD src0_sel:DWORD src1_sel:WORD_1
	v_fma_f16 v128, v12, v0, -v128
	v_mul_f16_sdwa v12, v12, v0 dst_sel:DWORD dst_unused:UNUSED_PAD src0_sel:DWORD src1_sel:WORD_1
	v_fma_f16 v12, v127, v0, v12
	v_mul_f16_sdwa v127, v109, v1 dst_sel:DWORD dst_unused:UNUSED_PAD src0_sel:DWORD src1_sel:WORD_1
	v_fma_f16 v127, v66, v1, -v127
	v_mul_f16_sdwa v66, v66, v1 dst_sel:DWORD dst_unused:UNUSED_PAD src0_sel:DWORD src1_sel:WORD_1
	v_fma_f16 v66, v109, v1, v66
	v_mul_f16_sdwa v109, v107, v2 dst_sel:DWORD dst_unused:UNUSED_PAD src0_sel:DWORD src1_sel:WORD_1
	;; [unrolled: 4-line block ×5, first 2 shown]
	v_mul_f16_sdwa v133, v113, v7 dst_sel:DWORD dst_unused:UNUSED_PAD src0_sel:DWORD src1_sel:WORD_1
	v_mul_f16_sdwa v134, v21, v7 dst_sel:DWORD dst_unused:UNUSED_PAD src0_sel:DWORD src1_sel:WORD_1
	v_fma_f16 v17, v17, v5, -v129
	v_fma_f16 v111, v111, v5, v130
	v_fma_f16 v55, v55, v53, -v135
	v_fma_f16 v114, v114, v53, v136
	v_fma_f16 v57, v57, v54, -v137
	v_fma_f16 v115, v115, v54, v138
	v_fma_f16 v67, v64, v44, -v67
	v_mul_f16_sdwa v64, v64, v44 dst_sel:DWORD dst_unused:UNUSED_PAD src0_sel:DWORD src1_sel:WORD_1
	v_fma_f16 v19, v19, v6, -v131
	v_fma_f16 v112, v112, v6, v132
	v_fma_f16 v21, v21, v7, -v133
	v_fma_f16 v113, v113, v7, v134
	v_fma_f16 v64, v68, v44, v64
	v_add_f16_e32 v68, v15, v57
	v_add_f16_e32 v129, v110, v115
	v_sub_f16_e32 v15, v15, v57
	v_sub_f16_e32 v57, v110, v115
	v_add_f16_e32 v110, v17, v55
	v_add_f16_e32 v115, v111, v114
	v_sub_f16_e32 v17, v17, v55
	v_sub_f16_e32 v55, v111, v114
	;; [unrolled: 4-line block ×4, first 2 shown]
	v_sub_f16_e32 v68, v68, v111
	v_sub_f16_e32 v129, v129, v114
	;; [unrolled: 1-line block ×4, first 2 shown]
	v_add_f16_e32 v132, v19, v17
	v_add_f16_e32 v133, v21, v55
	v_sub_f16_e32 v134, v19, v17
	v_sub_f16_e32 v135, v21, v55
	;; [unrolled: 1-line block ×4, first 2 shown]
	v_add_f16_e32 v111, v111, v112
	v_add_f16_e32 v112, v114, v113
	v_sub_f16_e32 v19, v15, v19
	v_sub_f16_e32 v21, v57, v21
	v_add_f16_e32 v15, v132, v15
	v_add_f16_e32 v57, v133, v57
	;; [unrolled: 1-line block ×3, first 2 shown]
	v_add_f16_sdwa v133, v13, v112 dst_sel:DWORD dst_unused:UNUSED_PAD src0_sel:WORD_1 src1_sel:DWORD
	v_mul_f16_e32 v13, 0x3a52, v68
	v_mul_f16_e32 v68, 0x3a52, v129
	v_mul_f16_e32 v113, 0x2b26, v110
	v_mul_f16_e32 v114, 0x2b26, v115
	v_mul_f16_e32 v129, 0xb846, v134
	v_mul_f16_e32 v134, 0xb846, v135
	v_mul_f16_e32 v135, 0x3b00, v17
	v_mul_f16_e32 v136, 0x3b00, v55
	v_mul_f16_sdwa v139, v116, v8 dst_sel:DWORD dst_unused:UNUSED_PAD src0_sel:DWORD src1_sel:WORD_1
	v_mul_f16_sdwa v140, v16, v8 dst_sel:DWORD dst_unused:UNUSED_PAD src0_sel:DWORD src1_sel:WORD_1
	;; [unrolled: 1-line block ×8, first 2 shown]
	v_fma_f16 v111, v111, s16, v132
	v_fma_f16 v112, v112, s16, v133
	;; [unrolled: 1-line block ×4, first 2 shown]
	v_fma_f16 v113, v130, s18, -v113
	v_fma_f16 v114, v131, s18, -v114
	v_fma_f16 v13, v130, s19, -v13
	v_fma_f16 v68, v131, s19, -v68
	v_fma_f16 v130, v19, s20, v129
	v_fma_f16 v131, v21, s20, v134
	v_fma_f16 v17, v17, s15, -v129
	v_fma_f16 v19, v19, s21, -v135
	v_fma_f16 v21, v21, s21, -v136
	v_mul_f16_sdwa v143, v120, v10 dst_sel:DWORD dst_unused:UNUSED_PAD src0_sel:DWORD src1_sel:WORD_1
	v_mul_f16_sdwa v144, v20, v10 dst_sel:DWORD dst_unused:UNUSED_PAD src0_sel:DWORD src1_sel:WORD_1
	;; [unrolled: 1-line block ×4, first 2 shown]
	v_fma_f16 v16, v16, v8, -v139
	v_fma_f16 v116, v116, v8, v140
	v_fma_f16 v18, v18, v9, -v141
	v_fma_f16 v117, v117, v9, v142
	;; [unrolled: 2-line block ×4, first 2 shown]
	v_fma_f16 v55, v55, s15, -v134
	v_add_f16_e32 v110, v110, v111
	v_add_f16_e32 v115, v115, v112
	;; [unrolled: 1-line block ×6, first 2 shown]
	v_fma_f16 v111, v15, s22, v130
	v_fma_f16 v112, v57, s22, v131
	;; [unrolled: 1-line block ×5, first 2 shown]
	v_fma_f16 v20, v20, v10, -v143
	v_fma_f16 v120, v120, v10, v144
	v_fma_f16 v22, v22, v11, -v145
	v_fma_f16 v121, v121, v11, v146
	v_fma_f16 v55, v57, s22, v55
	v_add_f16_e32 v21, v112, v110
	v_sub_f16_e32 v57, v115, v111
	v_add_f16_e32 v129, v19, v13
	v_sub_f16_e32 v130, v68, v15
	v_sub_f16_e32 v19, v13, v19
	v_add_f16_e32 v15, v15, v68
	v_sub_f16_e32 v68, v110, v112
	v_add_f16_e32 v135, v111, v115
	v_add_f16_e32 v13, v16, v58
	;; [unrolled: 1-line block ×5, first 2 shown]
	v_sub_f16_e32 v131, v113, v55
	v_add_f16_e32 v134, v17, v114
	v_add_f16_e32 v55, v55, v113
	v_sub_f16_e32 v17, v114, v17
	v_sub_f16_e32 v16, v16, v58
	;; [unrolled: 1-line block ×5, first 2 shown]
	v_add_f16_e32 v113, v20, v22
	v_add_f16_e32 v114, v120, v121
	v_sub_f16_e32 v20, v22, v20
	v_sub_f16_e32 v22, v121, v120
	v_add_f16_e32 v115, v111, v13
	v_add_f16_e32 v116, v112, v110
	v_sub_f16_e32 v117, v111, v13
	v_sub_f16_e32 v120, v112, v110
	;; [unrolled: 1-line block ×6, first 2 shown]
	v_add_f16_e32 v121, v20, v18
	v_add_f16_e32 v125, v22, v56
	v_sub_f16_e32 v126, v20, v18
	v_sub_f16_e32 v136, v22, v56
	v_sub_f16_e32 v18, v18, v16
	v_sub_f16_e32 v56, v56, v58
	v_add_f16_e32 v113, v113, v115
	v_add_f16_e32 v114, v114, v116
	v_sub_f16_e32 v20, v16, v20
	v_sub_f16_e32 v22, v58, v22
	v_add_f16_e32 v16, v121, v16
	v_add_f16_e32 v58, v125, v58
	;; [unrolled: 1-line block ×3, first 2 shown]
	v_add_f16_sdwa v14, v14, v114 dst_sel:DWORD dst_unused:UNUSED_PAD src0_sel:WORD_1 src1_sel:DWORD
	v_mul_f16_e32 v13, 0x3a52, v13
	v_mul_f16_e32 v110, 0x3a52, v110
	;; [unrolled: 1-line block ×8, first 2 shown]
	v_fma_f16 v113, v113, s16, v125
	v_fma_f16 v114, v114, s16, v14
	;; [unrolled: 1-line block ×4, first 2 shown]
	v_fma_f16 v115, v117, s18, -v115
	v_fma_f16 v116, v120, s18, -v116
	;; [unrolled: 1-line block ×4, first 2 shown]
	v_fma_f16 v117, v20, s20, v121
	v_fma_f16 v120, v22, s20, v126
	v_fma_f16 v18, v18, s15, -v121
	v_fma_f16 v20, v20, s21, -v136
	;; [unrolled: 1-line block ×3, first 2 shown]
	v_add_f16_e32 v111, v111, v113
	v_add_f16_e32 v112, v112, v114
	;; [unrolled: 1-line block ×6, first 2 shown]
	v_fma_f16 v113, v16, s22, v117
	v_fma_f16 v114, v58, s22, v120
	v_fma_f16 v18, v16, s22, v18
	v_fma_f16 v16, v16, s22, v20
	v_fma_f16 v20, v58, s22, v22
	v_fma_f16 v56, v56, s15, -v126
	v_add_f16_e32 v22, v114, v111
	v_add_f16_e32 v126, v20, v13
	v_sub_f16_e32 v136, v110, v16
	v_sub_f16_e32 v20, v13, v20
	v_add_f16_e32 v16, v16, v110
	v_sub_f16_e32 v139, v111, v114
	v_add_f16_e32 v13, v128, v67
	v_add_f16_e32 v110, v12, v64
	v_sub_f16_e32 v12, v12, v64
	v_add_f16_e32 v64, v127, v108
	v_add_f16_e32 v111, v66, v63
	v_fma_f16 v56, v58, s22, v56
	v_sub_f16_e32 v58, v112, v113
	v_add_f16_e32 v140, v113, v112
	v_sub_f16_e32 v108, v127, v108
	v_sub_f16_e32 v63, v66, v63
	v_add_f16_e32 v66, v109, v107
	v_add_f16_e32 v112, v62, v65
	v_sub_f16_e32 v107, v107, v109
	v_sub_f16_e32 v62, v65, v62
	v_add_f16_e32 v65, v64, v13
	v_add_f16_e32 v109, v111, v110
	v_sub_f16_e32 v137, v115, v56
	v_add_f16_e32 v138, v18, v116
	v_add_f16_e32 v56, v56, v115
	v_sub_f16_e32 v18, v116, v18
	v_sub_f16_e32 v67, v128, v67
	;; [unrolled: 1-line block ×8, first 2 shown]
	v_add_f16_e32 v13, v107, v108
	v_add_f16_e32 v116, v62, v63
	v_sub_f16_e32 v117, v107, v108
	v_sub_f16_e32 v120, v62, v63
	v_sub_f16_e32 v63, v63, v12
	v_add_f16_e32 v65, v66, v65
	v_add_f16_e32 v66, v112, v109
	v_sub_f16_e32 v107, v67, v107
	v_sub_f16_e32 v62, v12, v62
	;; [unrolled: 1-line block ×3, first 2 shown]
	v_add_f16_e32 v67, v13, v67
	v_add_f16_e32 v109, v116, v12
	;; [unrolled: 1-line block ×4, first 2 shown]
	v_mul_f16_e32 v60, 0x3a52, v115
	v_mul_f16_e32 v61, 0x3a52, v110
	;; [unrolled: 1-line block ×8, first 2 shown]
	v_fma_f16 v65, v65, s16, v12
	v_fma_f16 v66, v66, s16, v13
	;; [unrolled: 1-line block ×4, first 2 shown]
	v_fma_f16 v110, v113, s18, -v110
	v_fma_f16 v112, v114, s18, -v112
	;; [unrolled: 1-line block ×4, first 2 shown]
	v_fma_f16 v113, v107, s20, v115
	v_fma_f16 v114, v62, s20, v116
	v_fma_f16 v108, v108, s15, -v115
	v_fma_f16 v62, v62, s21, -v120
	v_add_f16_e32 v64, v64, v65
	v_add_f16_e32 v110, v110, v65
	;; [unrolled: 1-line block ×4, first 2 shown]
	v_fma_f16 v65, v67, s22, v113
	v_fma_f16 v113, v67, s22, v108
	;; [unrolled: 1-line block ×3, first 2 shown]
	v_fma_f16 v107, v107, s21, -v117
	v_add_f16_e32 v117, v111, v66
	v_add_f16_e32 v61, v61, v66
	v_fma_f16 v66, v109, s22, v114
	v_add_f16_e32 v108, v62, v60
	v_add_f16_e32 v114, v113, v112
	v_sub_f16_e32 v115, v112, v113
	v_sub_f16_e32 v112, v60, v62
	v_mul_u32_u24_e32 v60, 0x17a, v118
	v_add_lshl_u32 v118, v60, v119, 2
	v_pack_b32_f16 v17, v55, v17
	v_pack_b32_f16 v15, v19, v15
	v_add_u32_e32 v19, 0x200, v118
	ds_write2_b32 v19, v17, v15 offset0:88 offset1:142
	v_pack_b32_f16 v15, v68, v135
	v_pack_b32_f16 v60, v132, v133
	;; [unrolled: 1-line block ×3, first 2 shown]
	ds_write_b32 v118, v15 offset:1296
	v_mul_u32_u24_e32 v15, 0x17a, v122
	ds_write2_b32 v118, v60, v21 offset1:54
	v_pack_b32_f16 v21, v129, v130
	v_pack_b32_f16 v57, v131, v134
	v_add_lshl_u32 v119, v15, v123, 2
	v_pack_b32_f16 v14, v125, v14
	v_pack_b32_f16 v15, v22, v58
	v_fma_f16 v63, v63, s15, -v116
	ds_write2_b32 v118, v21, v57 offset0:108 offset1:162
	ds_write2_b32 v119, v14, v15 offset1:54
	v_pack_b32_f16 v14, v126, v136
	v_pack_b32_f16 v15, v137, v138
	v_fma_f16 v63, v109, s22, v63
	v_fma_f16 v67, v67, s22, v107
	ds_write2_b32 v119, v14, v15 offset0:108 offset1:162
	v_pack_b32_f16 v14, v56, v18
	v_pack_b32_f16 v15, v20, v16
	v_add_u32_e32 v16, 0x200, v119
	v_add_f16_e32 v120, v66, v64
	v_sub_f16_e32 v121, v117, v65
	v_sub_f16_e32 v111, v61, v67
	;; [unrolled: 1-line block ×3, first 2 shown]
	v_add_f16_e32 v110, v63, v110
	v_add_f16_e32 v113, v67, v61
	v_sub_f16_e32 v116, v64, v66
	v_add_f16_e32 v117, v65, v117
	ds_write2_b32 v16, v14, v15 offset0:88 offset1:142
	v_pack_b32_f16 v14, v139, v140
	v_lshlrev_b32_e32 v107, 2, v124
	ds_write_b32 v119, v14 offset:1296
	s_and_saveexec_b64 s[14:15], s[2:3]
	s_cbranch_execz .LBB0_11
; %bb.10:
	s_mov_b32 s16, 0x5040100
	v_perm_b32 v12, v13, v12, s16
	v_perm_b32 v13, v121, v120, s16
	v_add_u32_e32 v14, 0x1600, v107
	ds_write2_b32 v14, v12, v13 offset0:104 offset1:158
	v_perm_b32 v12, v111, v108, s16
	v_perm_b32 v13, v114, v109, s16
	v_add_u32_e32 v14, 0x1800, v107
	ds_write2_b32 v14, v12, v13 offset0:84 offset1:138
	v_perm_b32 v12, v115, v110, s16
	v_perm_b32 v13, v113, v112, s16
	ds_write2_b32 v14, v12, v13 offset0:192 offset1:246
	v_perm_b32 v12, v117, v116, s16
	ds_write_b32 v107, v12 offset:7344
.LBB0_11:
	s_or_b64 exec, exec, s[14:15]
	v_lshlrev_b32_e32 v12, 4, v82
	s_waitcnt lgkmcnt(0)
	s_barrier
	global_load_dwordx4 v[12:15], v12, s[4:5] offset:1504
	v_lshlrev_b32_e32 v20, 4, v23
	global_load_dwordx4 v[20:23], v20, s[4:5] offset:1504
	v_lshlrev_b32_e32 v16, 4, v59
	global_load_dwordx4 v[16:19], v16, s[4:5] offset:1504
	v_mov_b32_e32 v60, s17
	v_add_u32_e32 v57, 0x200, v69
	v_add_u32_e32 v62, 0xa00, v69
	ds_read2_b32 v[55:56], v69 offset1:126
	v_add_u32_e32 v126, 0xe00, v69
	v_add_u32_e32 v59, 0x1600, v69
	;; [unrolled: 1-line block ×4, first 2 shown]
	ds_read_b32 v68, v69 offset:7056
	v_addc_co_u32_e64 v128, vcc, 0, v60, s[6:7]
	ds_read2_b32 v[60:61], v57 offset0:124 offset1:250
	ds_read2_b32 v[62:63], v62 offset0:116 offset1:242
	;; [unrolled: 1-line block ×6, first 2 shown]
	s_waitcnt lgkmcnt(4)
	v_lshrrev_b32_e32 v133, 16, v62
	s_waitcnt lgkmcnt(3)
	v_lshrrev_b32_e32 v134, 16, v65
	v_lshrrev_b32_e32 v132, 16, v61
	s_waitcnt lgkmcnt(2)
	v_lshrrev_b32_e32 v135, 16, v66
	s_waitcnt lgkmcnt(0)
	v_lshrrev_b32_e32 v143, 16, v125
	s_movk_i32 s4, 0x3b9c
	s_mov_b32 s7, 0xbb9c
	v_lshrrev_b32_e32 v131, 16, v68
	s_movk_i32 s5, 0x38b4
	s_mov_b32 s14, 0xb8b4
	s_movk_i32 s6, 0x34f2
	v_lshrrev_b32_e32 v129, 16, v55
	v_lshrrev_b32_e32 v137, 16, v63
	;; [unrolled: 1-line block ×9, first 2 shown]
	s_waitcnt vmcnt(2)
	v_mul_f16_sdwa v146, v133, v13 dst_sel:DWORD dst_unused:UNUSED_PAD src0_sel:DWORD src1_sel:WORD_1
	v_mul_f16_sdwa v148, v134, v14 dst_sel:DWORD dst_unused:UNUSED_PAD src0_sel:DWORD src1_sel:WORD_1
	;; [unrolled: 1-line block ×6, first 2 shown]
	v_fma_f16 v62, v62, v13, -v146
	v_fma_f16 v65, v65, v14, -v148
	v_mul_f16_sdwa v144, v132, v12 dst_sel:DWORD dst_unused:UNUSED_PAD src0_sel:DWORD src1_sel:WORD_1
	v_mul_f16_sdwa v150, v135, v15 dst_sel:DWORD dst_unused:UNUSED_PAD src0_sel:DWORD src1_sel:WORD_1
	v_fma_f16 v132, v132, v12, v145
	v_fma_f16 v135, v135, v15, v151
	v_add_f16_e32 v145, v62, v65
	s_waitcnt vmcnt(1)
	v_mul_f16_sdwa v164, v143, v22 dst_sel:DWORD dst_unused:UNUSED_PAD src0_sel:DWORD src1_sel:WORD_1
	v_fma_f16 v61, v61, v12, -v144
	v_fma_f16 v133, v133, v13, v147
	v_fma_f16 v134, v134, v14, v149
	v_fma_f16 v66, v66, v15, -v150
	v_fma_f16 v145, v145, -0.5, v55
	v_sub_f16_e32 v146, v132, v135
	v_fma_f16 v144, v125, v22, -v164
	v_mul_f16_sdwa v125, v125, v22 dst_sel:DWORD dst_unused:UNUSED_PAD src0_sel:DWORD src1_sel:WORD_1
	v_fma_f16 v147, v146, s4, v145
	v_sub_f16_e32 v148, v133, v134
	v_sub_f16_e32 v149, v61, v62
	;; [unrolled: 1-line block ×3, first 2 shown]
	v_fma_f16 v145, v146, s7, v145
	v_fma_f16 v125, v143, v22, v125
	v_mul_f16_sdwa v143, v131, v23 dst_sel:DWORD dst_unused:UNUSED_PAD src0_sel:DWORD src1_sel:WORD_1
	v_fma_f16 v147, v148, s5, v147
	v_add_f16_e32 v149, v149, v150
	v_fma_f16 v145, v148, s14, v145
	v_fma_f16 v143, v68, v23, -v143
	v_mul_f16_sdwa v68, v68, v23 dst_sel:DWORD dst_unused:UNUSED_PAD src0_sel:DWORD src1_sel:WORD_1
	v_fma_f16 v147, v149, s6, v147
	v_fma_f16 v145, v149, s6, v145
	v_add_f16_e32 v149, v61, v66
	v_fma_f16 v68, v131, v23, v68
	v_add_f16_e32 v131, v55, v61
	v_fma_f16 v55, v149, -0.5, v55
	v_add_f16_e32 v131, v131, v62
	v_fma_f16 v149, v148, s7, v55
	v_fma_f16 v55, v148, s4, v55
	v_add_f16_e32 v148, v133, v134
	v_add_f16_e32 v131, v131, v65
	v_sub_f16_e32 v150, v62, v61
	v_sub_f16_e32 v151, v65, v66
	v_fma_f16 v148, v148, -0.5, v129
	v_sub_f16_e32 v61, v61, v66
	v_add_f16_e32 v131, v131, v66
	v_fma_f16 v149, v146, s5, v149
	v_add_f16_e32 v150, v150, v151
	v_fma_f16 v55, v146, s14, v55
	v_fma_f16 v66, v61, s7, v148
	v_sub_f16_e32 v62, v62, v65
	v_fma_f16 v149, v150, s6, v149
	v_fma_f16 v55, v150, s6, v55
	;; [unrolled: 1-line block ×3, first 2 shown]
	v_sub_f16_e32 v66, v132, v133
	v_sub_f16_e32 v150, v135, v134
	v_fma_f16 v148, v61, s4, v148
	v_add_f16_e32 v66, v66, v150
	v_fma_f16 v148, v62, s5, v148
	v_fma_f16 v65, v66, s6, v65
	;; [unrolled: 1-line block ×3, first 2 shown]
	v_add_f16_e32 v148, v132, v135
	s_waitcnt vmcnt(0)
	v_mul_f16_sdwa v154, v137, v17 dst_sel:DWORD dst_unused:UNUSED_PAD src0_sel:DWORD src1_sel:WORD_1
	v_mul_f16_sdwa v156, v138, v18 dst_sel:DWORD dst_unused:UNUSED_PAD src0_sel:DWORD src1_sel:WORD_1
	v_add_f16_e32 v146, v129, v132
	v_fma_f16 v129, v148, -0.5, v129
	v_mul_f16_sdwa v153, v122, v16 dst_sel:DWORD dst_unused:UNUSED_PAD src0_sel:DWORD src1_sel:WORD_1
	v_mul_f16_sdwa v155, v63, v17 dst_sel:DWORD dst_unused:UNUSED_PAD src0_sel:DWORD src1_sel:WORD_1
	;; [unrolled: 1-line block ×4, first 2 shown]
	v_fma_f16 v63, v63, v17, -v154
	v_fma_f16 v124, v124, v18, -v156
	v_add_f16_e32 v146, v146, v133
	v_fma_f16 v148, v62, s4, v129
	v_sub_f16_e32 v132, v133, v132
	v_sub_f16_e32 v133, v134, v135
	v_fma_f16 v62, v62, s7, v129
	v_mul_f16_sdwa v152, v136, v16 dst_sel:DWORD dst_unused:UNUSED_PAD src0_sel:DWORD src1_sel:WORD_1
	v_mul_f16_sdwa v158, v139, v19 dst_sel:DWORD dst_unused:UNUSED_PAD src0_sel:DWORD src1_sel:WORD_1
	v_fma_f16 v136, v136, v16, v153
	v_fma_f16 v139, v139, v19, v159
	;; [unrolled: 1-line block ×3, first 2 shown]
	v_add_f16_e32 v132, v132, v133
	v_fma_f16 v61, v61, s5, v62
	v_add_f16_e32 v129, v63, v124
	v_fma_f16 v122, v122, v16, -v152
	v_fma_f16 v137, v137, v17, v155
	v_fma_f16 v138, v138, v18, v157
	v_fma_f16 v67, v67, v19, -v158
	v_add_f16_e32 v146, v146, v134
	v_fma_f16 v133, v132, s6, v148
	v_fma_f16 v61, v132, s6, v61
	v_fma_f16 v129, v129, -0.5, v56
	v_sub_f16_e32 v132, v136, v139
	v_add_f16_e32 v146, v146, v135
	v_fma_f16 v134, v132, s4, v129
	v_sub_f16_e32 v135, v137, v138
	v_sub_f16_e32 v148, v122, v63
	;; [unrolled: 1-line block ×3, first 2 shown]
	v_fma_f16 v129, v132, s7, v129
	v_fma_f16 v134, v135, s5, v134
	v_add_f16_e32 v148, v148, v150
	v_fma_f16 v129, v135, s14, v129
	v_add_f16_e32 v62, v56, v122
	v_fma_f16 v134, v148, s6, v134
	v_fma_f16 v129, v148, s6, v129
	v_add_f16_e32 v148, v122, v67
	v_add_f16_e32 v62, v62, v63
	v_fma_f16 v56, v148, -0.5, v56
	v_add_f16_e32 v62, v62, v124
	v_fma_f16 v148, v135, s7, v56
	v_sub_f16_e32 v150, v63, v122
	v_sub_f16_e32 v151, v124, v67
	v_fma_f16 v56, v135, s4, v56
	v_add_f16_e32 v135, v137, v138
	v_add_f16_e32 v62, v62, v67
	v_fma_f16 v148, v132, s5, v148
	v_add_f16_e32 v150, v150, v151
	v_fma_f16 v56, v132, s14, v56
	v_fma_f16 v135, v135, -0.5, v130
	v_sub_f16_e32 v67, v122, v67
	v_fma_f16 v148, v150, s6, v148
	v_fma_f16 v56, v150, s6, v56
	;; [unrolled: 1-line block ×3, first 2 shown]
	v_sub_f16_e32 v63, v63, v124
	v_sub_f16_e32 v124, v136, v137
	;; [unrolled: 1-line block ×3, first 2 shown]
	v_fma_f16 v122, v63, s14, v122
	v_add_f16_e32 v124, v124, v150
	v_fma_f16 v150, v124, s6, v122
	v_fma_f16 v122, v67, s4, v135
	;; [unrolled: 1-line block ×4, first 2 shown]
	v_add_f16_e32 v122, v136, v139
	v_mul_f16_sdwa v162, v142, v21 dst_sel:DWORD dst_unused:UNUSED_PAD src0_sel:DWORD src1_sel:WORD_1
	v_fma_f16 v122, v122, -0.5, v130
	v_mul_f16_sdwa v161, v123, v20 dst_sel:DWORD dst_unused:UNUSED_PAD src0_sel:DWORD src1_sel:WORD_1
	v_mul_f16_sdwa v163, v64, v21 dst_sel:DWORD dst_unused:UNUSED_PAD src0_sel:DWORD src1_sel:WORD_1
	v_fma_f16 v64, v64, v21, -v162
	v_add_f16_e32 v132, v130, v136
	v_fma_f16 v130, v63, s4, v122
	v_sub_f16_e32 v135, v137, v136
	v_sub_f16_e32 v136, v138, v139
	v_fma_f16 v63, v63, s7, v122
	v_mul_f16_sdwa v160, v141, v20 dst_sel:DWORD dst_unused:UNUSED_PAD src0_sel:DWORD src1_sel:WORD_1
	v_fma_f16 v141, v141, v20, v161
	v_add_f16_e32 v132, v132, v137
	v_fma_f16 v130, v67, s14, v130
	v_add_f16_e32 v135, v135, v136
	;; [unrolled: 2-line block ×3, first 2 shown]
	v_fma_f16 v123, v123, v20, -v160
	v_fma_f16 v142, v142, v21, v163
	v_add_f16_e32 v132, v132, v138
	v_fma_f16 v130, v135, s6, v130
	v_fma_f16 v63, v135, s6, v63
	v_fma_f16 v122, v122, -0.5, v60
	v_sub_f16_e32 v135, v141, v68
	v_add_f16_e32 v132, v132, v139
	v_fma_f16 v136, v135, s4, v122
	v_sub_f16_e32 v137, v142, v125
	v_sub_f16_e32 v138, v123, v64
	v_sub_f16_e32 v139, v143, v144
	v_fma_f16 v122, v135, s7, v122
	v_fma_f16 v136, v137, s5, v136
	v_add_f16_e32 v138, v138, v139
	v_fma_f16 v122, v137, s14, v122
	v_fma_f16 v136, v138, s6, v136
	;; [unrolled: 1-line block ×3, first 2 shown]
	v_add_f16_e32 v138, v123, v143
	v_add_f16_e32 v67, v60, v123
	v_fma_f16 v60, v138, -0.5, v60
	v_fma_f16 v138, v137, s7, v60
	v_sub_f16_e32 v139, v64, v123
	v_sub_f16_e32 v151, v144, v143
	v_fma_f16 v60, v137, s4, v60
	v_add_f16_e32 v67, v67, v64
	v_fma_f16 v138, v135, s5, v138
	v_add_f16_e32 v139, v139, v151
	v_fma_f16 v60, v135, s14, v60
	v_add_f16_e32 v137, v142, v125
	v_add_f16_e32 v67, v67, v144
	v_fma_f16 v138, v139, s6, v138
	v_fma_f16 v60, v139, s6, v60
	v_fma_f16 v137, v137, -0.5, v140
	v_sub_f16_e32 v139, v123, v143
	v_add_f16_e32 v67, v67, v143
	v_fma_f16 v123, v139, s7, v137
	v_sub_f16_e32 v64, v64, v144
	v_sub_f16_e32 v143, v141, v142
	;; [unrolled: 1-line block ×3, first 2 shown]
	v_add_f16_e32 v135, v140, v141
	v_fma_f16 v123, v64, s14, v123
	v_add_f16_e32 v143, v143, v144
	v_add_f16_e32 v135, v135, v142
	v_fma_f16 v144, v143, s6, v123
	v_fma_f16 v123, v139, s4, v137
	v_add_f16_e32 v137, v141, v68
	v_add_f16_e32 v135, v135, v125
	v_fma_f16 v137, v137, -0.5, v140
	v_add_f16_e32 v135, v135, v68
	v_fma_f16 v123, v64, s5, v123
	v_fma_f16 v140, v64, s4, v137
	v_sub_f16_e32 v141, v142, v141
	v_sub_f16_e32 v68, v125, v68
	v_fma_f16 v64, v64, s7, v137
	v_pack_b32_f16 v55, v55, v61
	v_fma_f16 v140, v139, s14, v140
	v_add_f16_e32 v68, v141, v68
	v_fma_f16 v64, v139, s5, v64
	v_pack_b32_f16 v65, v147, v65
	ds_write_b32 v69, v55 offset:4536
	v_pack_b32_f16 v55, v145, v66
	v_fma_f16 v125, v68, s6, v140
	v_fma_f16 v64, v68, s6, v64
	v_pack_b32_f16 v68, v131, v146
	ds_write_b32 v69, v65 offset:1512
	v_pack_b32_f16 v65, v149, v133
	ds_write_b32 v69, v55 offset:6048
	v_pack_b32_f16 v55, v62, v132
	v_pack_b32_f16 v56, v56, v63
	ds_write_b32 v69, v65 offset:3024
	ds_write2_b32 v69, v68, v55 offset1:126
	ds_write_b32 v69, v56 offset:5040
	v_pack_b32_f16 v56, v129, v124
	ds_write_b32 v69, v56 offset:6552
	v_pack_b32_f16 v56, v67, v135
	v_pack_b32_f16 v55, v134, v150
	v_pack_b32_f16 v61, v148, v130
	ds_write_b32 v69, v56 offset:1008
	v_pack_b32_f16 v56, v136, v144
	ds_write_b32 v69, v61 offset:3528
	ds_write2_b32 v58, v55, v56 offset0:120 offset1:246
	v_pack_b32_f16 v55, v138, v125
	v_fma_f16 v123, v143, s6, v123
	ds_write_b32 v69, v55 offset:4032
	v_pack_b32_f16 v55, v60, v64
	ds_write_b32 v69, v55 offset:5544
	v_pack_b32_f16 v55, v122, v123
	s_movk_i32 s4, 0x1000
	ds_write_b32 v69, v55 offset:7056
	v_add_co_u32_e32 v55, vcc, s4, v24
	v_addc_co_u32_e32 v56, vcc, 0, v128, vcc
	s_waitcnt lgkmcnt(0)
	s_barrier
	global_load_dword v65, v[55:56], off offset:3464
	s_movk_i32 s4, 0x1d88
	v_add_co_u32_e32 v55, vcc, s4, v24
	v_addc_co_u32_e32 v56, vcc, 0, v128, vcc
	global_load_dword v68, v[55:56], off offset:3780
	global_load_dword v124, v[55:56], off offset:504
	s_movk_i32 s4, 0x2000
	v_add_co_u32_e32 v60, vcc, s4, v24
	v_addc_co_u32_e32 v61, vcc, 0, v128, vcc
	global_load_dword v125, v[60:61], off offset:3652
	;; [unrolled: 5-line block ×3, first 2 shown]
	global_load_dword v130, v[55:56], off offset:1512
	global_load_dword v131, v[61:62], off offset:564
	;; [unrolled: 1-line block ×8, first 2 shown]
	ds_read2_b32 v[63:64], v69 offset1:126
	s_waitcnt lgkmcnt(0)
	v_lshrrev_b32_e32 v60, 16, v63
	v_lshrrev_b32_e32 v137, 16, v64
	s_waitcnt vmcnt(13)
	v_mul_f16_sdwa v66, v60, v65 dst_sel:DWORD dst_unused:UNUSED_PAD src0_sel:DWORD src1_sel:WORD_1
	v_fma_f16 v66, v63, v65, -v66
	v_mul_f16_sdwa v63, v63, v65 dst_sel:DWORD dst_unused:UNUSED_PAD src0_sel:DWORD src1_sel:WORD_1
	v_fma_f16 v60, v60, v65, v63
	v_pack_b32_f16 v60, v66, v60
	ds_write_b32 v69, v60
	v_add_u32_e32 v60, 0xb00, v69
	ds_read2_b32 v[66:67], v60 offset0:52 offset1:241
	s_waitcnt vmcnt(11)
	v_mul_f16_sdwa v138, v137, v124 dst_sel:DWORD dst_unused:UNUSED_PAD src0_sel:DWORD src1_sel:WORD_1
	v_mul_f16_sdwa v62, v64, v124 dst_sel:DWORD dst_unused:UNUSED_PAD src0_sel:DWORD src1_sel:WORD_1
	v_fma_f16 v61, v64, v124, -v138
	v_fma_f16 v62, v137, v124, v62
	s_waitcnt lgkmcnt(0)
	v_lshrrev_b32_e32 v63, 16, v67
	v_mul_f16_sdwa v65, v63, v68 dst_sel:DWORD dst_unused:UNUSED_PAD src0_sel:DWORD src1_sel:WORD_1
	v_fma_f16 v65, v67, v68, -v65
	v_mul_f16_sdwa v67, v67, v68 dst_sel:DWORD dst_unused:UNUSED_PAD src0_sel:DWORD src1_sel:WORD_1
	v_fma_f16 v63, v63, v68, v67
	v_pack_b32_f16 v65, v65, v63
	v_add_u32_e32 v63, 0x1000, v69
	ds_read2_b32 v[67:68], v63 offset0:47 offset1:173
	v_pack_b32_f16 v64, v61, v62
	s_waitcnt lgkmcnt(0)
	v_lshrrev_b32_e32 v124, 16, v67
	s_waitcnt vmcnt(10)
	v_mul_f16_sdwa v61, v124, v125 dst_sel:DWORD dst_unused:UNUSED_PAD src0_sel:DWORD src1_sel:WORD_1
	v_fma_f16 v137, v67, v125, -v61
	ds_read2_b32 v[61:62], v57 offset0:124 offset1:250
	v_mul_f16_sdwa v67, v67, v125 dst_sel:DWORD dst_unused:UNUSED_PAD src0_sel:DWORD src1_sel:WORD_1
	v_fma_f16 v67, v124, v125, v67
	v_pack_b32_f16 v67, v137, v67
	ds_write2_b32 v126, v65, v67 offset0:49 offset1:175
	s_waitcnt lgkmcnt(1)
	v_lshrrev_b32_e32 v65, 16, v61
	s_waitcnt vmcnt(9)
	v_mul_f16_sdwa v67, v65, v129 dst_sel:DWORD dst_unused:UNUSED_PAD src0_sel:DWORD src1_sel:WORD_1
	v_fma_f16 v67, v61, v129, -v67
	v_mul_f16_sdwa v61, v61, v129 dst_sel:DWORD dst_unused:UNUSED_PAD src0_sel:DWORD src1_sel:WORD_1
	v_fma_f16 v61, v65, v129, v61
	v_pack_b32_f16 v61, v67, v61
	ds_write2_b32 v69, v64, v61 offset0:126 offset1:252
	v_lshrrev_b32_e32 v61, 16, v68
	s_waitcnt vmcnt(8)
	v_mul_f16_sdwa v65, v68, v128 dst_sel:DWORD dst_unused:UNUSED_PAD src0_sel:DWORD src1_sel:WORD_1
	v_mul_f16_sdwa v64, v61, v128 dst_sel:DWORD dst_unused:UNUSED_PAD src0_sel:DWORD src1_sel:WORD_1
	v_fma_f16 v61, v61, v128, v65
	v_add_u32_e32 v65, 0x1400, v69
	v_fma_f16 v64, v68, v128, -v64
	ds_read2_b32 v[67:68], v65 offset0:43 offset1:169
	v_pack_b32_f16 v64, v64, v61
	v_lshrrev_b32_e32 v61, 16, v62
	s_waitcnt vmcnt(7)
	v_mul_f16_sdwa v124, v61, v130 dst_sel:DWORD dst_unused:UNUSED_PAD src0_sel:DWORD src1_sel:WORD_1
	v_fma_f16 v124, v62, v130, -v124
	v_mul_f16_sdwa v62, v62, v130 dst_sel:DWORD dst_unused:UNUSED_PAD src0_sel:DWORD src1_sel:WORD_1
	v_fma_f16 v61, v61, v130, v62
	s_waitcnt lgkmcnt(0)
	v_lshrrev_b32_e32 v125, 16, v67
	v_pack_b32_f16 v124, v124, v61
	s_waitcnt vmcnt(6)
	v_mul_f16_sdwa v61, v125, v131 dst_sel:DWORD dst_unused:UNUSED_PAD src0_sel:DWORD src1_sel:WORD_1
	v_fma_f16 v126, v67, v131, -v61
	ds_read2_b32 v[61:62], v58 offset0:120 offset1:246
	v_mul_f16_sdwa v67, v67, v131 dst_sel:DWORD dst_unused:UNUSED_PAD src0_sel:DWORD src1_sel:WORD_1
	v_fma_f16 v67, v125, v131, v67
	v_pack_b32_f16 v67, v126, v67
	ds_write2_b32 v127, v64, v67 offset0:45 offset1:171
	s_waitcnt lgkmcnt(1)
	v_lshrrev_b32_e32 v64, 16, v61
	s_waitcnt vmcnt(5)
	v_mul_f16_sdwa v67, v64, v132 dst_sel:DWORD dst_unused:UNUSED_PAD src0_sel:DWORD src1_sel:WORD_1
	v_fma_f16 v67, v61, v132, -v67
	v_mul_f16_sdwa v61, v61, v132 dst_sel:DWORD dst_unused:UNUSED_PAD src0_sel:DWORD src1_sel:WORD_1
	v_fma_f16 v61, v64, v132, v61
	v_pack_b32_f16 v61, v67, v61
	v_add_u32_e32 v64, 0x400, v69
	ds_write2_b32 v64, v124, v61 offset0:122 offset1:248
	v_lshrrev_b32_e32 v61, 16, v68
	s_waitcnt vmcnt(4)
	v_mul_f16_sdwa v67, v68, v133 dst_sel:DWORD dst_unused:UNUSED_PAD src0_sel:DWORD src1_sel:WORD_1
	v_mul_f16_sdwa v64, v61, v133 dst_sel:DWORD dst_unused:UNUSED_PAD src0_sel:DWORD src1_sel:WORD_1
	v_fma_f16 v61, v61, v133, v67
	v_add_u32_e32 v67, 0x1800, v69
	ds_read2_b32 v[124:125], v67 offset0:39 offset1:165
	v_fma_f16 v64, v68, v133, -v64
	v_pack_b32_f16 v61, v64, v61
	v_lshrrev_b32_e32 v64, 16, v62
	s_waitcnt vmcnt(1)
	v_mul_f16_sdwa v68, v64, v134 dst_sel:DWORD dst_unused:UNUSED_PAD src0_sel:DWORD src1_sel:WORD_1
	v_fma_f16 v68, v62, v134, -v68
	v_mul_f16_sdwa v62, v62, v134 dst_sel:DWORD dst_unused:UNUSED_PAD src0_sel:DWORD src1_sel:WORD_1
	v_fma_f16 v62, v64, v134, v62
	s_waitcnt lgkmcnt(0)
	v_lshrrev_b32_e32 v64, 16, v124
	v_pack_b32_f16 v62, v68, v62
	v_mul_f16_sdwa v68, v64, v135 dst_sel:DWORD dst_unused:UNUSED_PAD src0_sel:DWORD src1_sel:WORD_1
	v_fma_f16 v68, v124, v135, -v68
	v_mul_f16_sdwa v124, v124, v135 dst_sel:DWORD dst_unused:UNUSED_PAD src0_sel:DWORD src1_sel:WORD_1
	v_fma_f16 v64, v64, v135, v124
	v_pack_b32_f16 v64, v68, v64
	ds_write2_b32 v59, v61, v64 offset0:41 offset1:167
	v_lshrrev_b32_e32 v59, 16, v66
	s_waitcnt vmcnt(0)
	v_mul_f16_sdwa v61, v59, v136 dst_sel:DWORD dst_unused:UNUSED_PAD src0_sel:DWORD src1_sel:WORD_1
	v_mul_f16_sdwa v64, v66, v136 dst_sel:DWORD dst_unused:UNUSED_PAD src0_sel:DWORD src1_sel:WORD_1
	v_fma_f16 v61, v66, v136, -v61
	v_fma_f16 v59, v59, v136, v64
	v_pack_b32_f16 v59, v61, v59
	v_add_u32_e32 v61, 0x800, v69
	ds_write2_b32 v61, v62, v59 offset0:118 offset1:244
	v_lshrrev_b32_e32 v59, 16, v125
	v_mul_f16_sdwa v61, v59, v139 dst_sel:DWORD dst_unused:UNUSED_PAD src0_sel:DWORD src1_sel:WORD_1
	v_mul_f16_sdwa v62, v125, v139 dst_sel:DWORD dst_unused:UNUSED_PAD src0_sel:DWORD src1_sel:WORD_1
	v_fma_f16 v61, v125, v139, -v61
	v_fma_f16 v59, v59, v139, v62
	v_pack_b32_f16 v59, v61, v59
	ds_write_b32 v69, v59 offset:6804
	s_and_saveexec_b64 s[4:5], s[0:1]
	s_cbranch_execz .LBB0_13
; %bb.12:
	global_load_dword v59, v[55:56], off offset:3528
	v_add_co_u32_e32 v55, vcc, 0x1000, v55
	v_addc_co_u32_e32 v56, vcc, 0, v56, vcc
	global_load_dword v55, v[55:56], off offset:3212
	ds_read_b32 v56, v69 offset:3528
	ds_read_b32 v61, v69 offset:7308
	s_waitcnt lgkmcnt(1)
	v_lshrrev_b32_e32 v62, 16, v56
	s_waitcnt lgkmcnt(0)
	v_lshrrev_b32_e32 v64, 16, v61
	s_waitcnt vmcnt(1)
	v_mul_f16_sdwa v66, v62, v59 dst_sel:DWORD dst_unused:UNUSED_PAD src0_sel:DWORD src1_sel:WORD_1
	v_mul_f16_sdwa v68, v56, v59 dst_sel:DWORD dst_unused:UNUSED_PAD src0_sel:DWORD src1_sel:WORD_1
	v_fma_f16 v56, v56, v59, -v66
	v_fma_f16 v59, v62, v59, v68
	v_pack_b32_f16 v56, v56, v59
	s_waitcnt vmcnt(0)
	v_mul_f16_sdwa v59, v64, v55 dst_sel:DWORD dst_unused:UNUSED_PAD src0_sel:DWORD src1_sel:WORD_1
	v_mul_f16_sdwa v62, v61, v55 dst_sel:DWORD dst_unused:UNUSED_PAD src0_sel:DWORD src1_sel:WORD_1
	ds_write_b32 v69, v56 offset:3528
	v_fma_f16 v56, v61, v55, -v59
	v_fma_f16 v55, v64, v55, v62
	v_pack_b32_f16 v55, v56, v55
	ds_write_b32 v69, v55 offset:7308
.LBB0_13:
	s_or_b64 exec, exec, s[4:5]
	s_waitcnt lgkmcnt(0)
	s_barrier
	ds_read2_b32 v[61:62], v69 offset1:126
	ds_read2_b32 v[55:56], v60 offset0:52 offset1:241
	ds_read2_b32 v[63:64], v63 offset0:47 offset1:173
	;; [unrolled: 1-line block ×6, first 2 shown]
	v_add_u32_e32 v124, 0x13b0, v91
	v_add_u32_e32 v91, 0x17a0, v91
	s_and_saveexec_b64 s[4:5], s[0:1]
	s_cbranch_execz .LBB0_15
; %bb.14:
	ds_read_b32 v122, v69 offset:3528
	ds_read_b32 v120, v69 offset:7308
	s_waitcnt lgkmcnt(1)
	v_lshrrev_b32_e32 v123, 16, v122
	s_waitcnt lgkmcnt(0)
	v_lshrrev_b32_e32 v121, 16, v120
.LBB0_15:
	s_or_b64 exec, exec, s[4:5]
	s_waitcnt lgkmcnt(5)
	v_pk_add_f16 v126, v61, v56 neg_lo:[0,1] neg_hi:[0,1]
	s_waitcnt lgkmcnt(4)
	v_pk_add_f16 v127, v62, v63 neg_lo:[0,1] neg_hi:[0,1]
	v_pk_fma_f16 v125, v61, 2.0, v126 op_sel_hi:[1,0,1] neg_lo:[0,0,1] neg_hi:[0,0,1]
	s_waitcnt lgkmcnt(3)
	v_pk_add_f16 v128, v59, v64 neg_lo:[0,1] neg_hi:[0,1]
	s_waitcnt lgkmcnt(2)
	v_pk_add_f16 v65, v60, v65 neg_lo:[0,1] neg_hi:[0,1]
	s_waitcnt lgkmcnt(0)
	s_barrier
	ds_write_b64 v86, v[125:126]
	v_pk_fma_f16 v126, v62, 2.0, v127 op_sel_hi:[1,0,1] neg_lo:[0,0,1] neg_hi:[0,0,1]
	v_pk_add_f16 v66, v57, v66 neg_lo:[0,1] neg_hi:[0,1]
	ds_write_b64 v87, v[126:127]
	v_pk_fma_f16 v127, v59, 2.0, v128 op_sel_hi:[1,0,1] neg_lo:[0,0,1] neg_hi:[0,0,1]
	v_pk_fma_f16 v64, v60, 2.0, v65 op_sel_hi:[1,0,1] neg_lo:[0,0,1] neg_hi:[0,0,1]
	v_pk_add_f16 v67, v58, v67 neg_lo:[0,1] neg_hi:[0,1]
	ds_write_b64 v88, v[127:128]
	ds_write_b64 v89, v[64:65]
	v_pk_fma_f16 v65, v57, 2.0, v66 op_sel_hi:[1,0,1] neg_lo:[0,0,1] neg_hi:[0,0,1]
	v_pk_add_f16 v68, v55, v68 neg_lo:[0,1] neg_hi:[0,1]
	ds_write_b64 v90, v[65:66]
	v_pk_fma_f16 v66, v58, 2.0, v67 op_sel_hi:[1,0,1] neg_lo:[0,0,1] neg_hi:[0,0,1]
	v_sub_f16_e32 v56, v122, v120
	v_sub_f16_e32 v63, v123, v121
	ds_write_b64 v124, v[66:67]
	v_pk_fma_f16 v67, v55, 2.0, v68 op_sel_hi:[1,0,1] neg_lo:[0,0,1] neg_hi:[0,0,1]
	ds_write_b64 v91, v[67:68]
	s_and_saveexec_b64 s[4:5], s[0:1]
	s_cbranch_execz .LBB0_17
; %bb.16:
	v_fma_f16 v55, v122, 2.0, -v56
	v_fma_f16 v57, v123, 2.0, -v63
	s_mov_b32 s6, 0x5040100
	v_pack_b32_f16 v57, v55, v57
	v_perm_b32 v58, v63, v56, s6
	ds_write_b64 v85, v[57:58]
.LBB0_17:
	s_or_b64 exec, exec, s[4:5]
	v_add_u32_e32 v55, 0x600, v69
	s_waitcnt lgkmcnt(0)
	s_barrier
	ds_read2_b32 v[59:60], v55 offset0:120 offset1:246
	v_add_u32_e32 v68, 0x1200, v69
	ds_read2_b32 v[61:62], v68 offset0:108 offset1:234
	v_add_u32_e32 v91, 0xa00, v69
	ds_read2_b32 v[64:65], v91 offset0:116 offset1:242
	s_waitcnt lgkmcnt(2)
	v_lshrrev_b32_e32 v90, 16, v60
	v_mul_f16_sdwa v137, v27, v90 dst_sel:DWORD dst_unused:UNUSED_PAD src0_sel:WORD_1 src1_sel:DWORD
	s_waitcnt lgkmcnt(1)
	v_lshrrev_b32_e32 v120, 16, v61
	v_fma_f16 v137, v27, v60, v137
	v_mul_f16_sdwa v60, v27, v60 dst_sel:DWORD dst_unused:UNUSED_PAD src0_sel:WORD_1 src1_sel:DWORD
	v_fma_f16 v60, v27, v90, -v60
	v_mul_f16_sdwa v90, v28, v120 dst_sel:DWORD dst_unused:UNUSED_PAD src0_sel:WORD_1 src1_sel:DWORD
	s_waitcnt lgkmcnt(0)
	v_lshrrev_b32_e32 v123, 16, v64
	v_add_u32_e32 v125, 0x1600, v69
	v_fma_f16 v90, v28, v61, v90
	v_mul_f16_sdwa v61, v28, v61 dst_sel:DWORD dst_unused:UNUSED_PAD src0_sel:WORD_1 src1_sel:DWORD
	ds_read2_b32 v[85:86], v125 offset0:104 offset1:230
	v_fma_f16 v61, v28, v120, -v61
	v_mul_f16_sdwa v120, v27, v123 dst_sel:DWORD dst_unused:UNUSED_PAD src0_sel:WORD_1 src1_sel:DWORD
	v_lshrrev_b32_e32 v124, 16, v62
	v_add_u32_e32 v127, 0xe00, v69
	v_fma_f16 v120, v27, v64, v120
	v_mul_f16_sdwa v64, v27, v64 dst_sel:DWORD dst_unused:UNUSED_PAD src0_sel:WORD_1 src1_sel:DWORD
	ds_read2_b32 v[87:88], v127 offset0:112 offset1:238
	v_fma_f16 v64, v27, v123, -v64
	v_mul_f16_sdwa v123, v28, v124 dst_sel:DWORD dst_unused:UNUSED_PAD src0_sel:WORD_1 src1_sel:DWORD
	v_lshrrev_b32_e32 v128, 16, v65
	v_fma_f16 v123, v28, v62, v123
	v_mul_f16_sdwa v62, v28, v62 dst_sel:DWORD dst_unused:UNUSED_PAD src0_sel:WORD_1 src1_sel:DWORD
	v_fma_f16 v62, v28, v124, -v62
	v_mul_f16_sdwa v124, v27, v128 dst_sel:DWORD dst_unused:UNUSED_PAD src0_sel:WORD_1 src1_sel:DWORD
	s_waitcnt lgkmcnt(1)
	v_lshrrev_b32_e32 v129, 16, v85
	v_fma_f16 v124, v27, v65, v124
	v_mul_f16_sdwa v65, v27, v65 dst_sel:DWORD dst_unused:UNUSED_PAD src0_sel:WORD_1 src1_sel:DWORD
	v_fma_f16 v65, v27, v128, -v65
	v_mul_f16_sdwa v128, v28, v129 dst_sel:DWORD dst_unused:UNUSED_PAD src0_sel:WORD_1 src1_sel:DWORD
	s_waitcnt lgkmcnt(0)
	v_lshrrev_b32_e32 v132, 16, v87
	v_fma_f16 v128, v28, v85, v128
	v_mul_f16_sdwa v85, v28, v85 dst_sel:DWORD dst_unused:UNUSED_PAD src0_sel:WORD_1 src1_sel:DWORD
	ds_read_b32 v131, v69 offset:7056
	v_fma_f16 v85, v28, v129, -v85
	v_mul_f16_sdwa v129, v27, v132 dst_sel:DWORD dst_unused:UNUSED_PAD src0_sel:WORD_1 src1_sel:DWORD
	v_lshrrev_b32_e32 v133, 16, v86
	v_fma_f16 v129, v27, v87, v129
	v_mul_f16_sdwa v87, v27, v87 dst_sel:DWORD dst_unused:UNUSED_PAD src0_sel:WORD_1 src1_sel:DWORD
	v_fma_f16 v87, v27, v132, -v87
	v_mul_f16_sdwa v132, v28, v133 dst_sel:DWORD dst_unused:UNUSED_PAD src0_sel:WORD_1 src1_sel:DWORD
	ds_read2_b32 v[57:58], v69 offset1:126
	v_lshrrev_b32_e32 v135, 16, v88
	v_fma_f16 v132, v28, v86, v132
	v_mul_f16_sdwa v86, v28, v86 dst_sel:DWORD dst_unused:UNUSED_PAD src0_sel:WORD_1 src1_sel:DWORD
	v_fma_f16 v86, v28, v133, -v86
	v_mul_f16_sdwa v133, v27, v135 dst_sel:DWORD dst_unused:UNUSED_PAD src0_sel:WORD_1 src1_sel:DWORD
	s_waitcnt lgkmcnt(1)
	v_lshrrev_b32_e32 v136, 16, v131
	v_fma_f16 v133, v27, v88, v133
	v_mul_f16_sdwa v88, v27, v88 dst_sel:DWORD dst_unused:UNUSED_PAD src0_sel:WORD_1 src1_sel:DWORD
	v_fma_f16 v27, v27, v135, -v88
	v_mul_f16_sdwa v88, v28, v136 dst_sel:DWORD dst_unused:UNUSED_PAD src0_sel:WORD_1 src1_sel:DWORD
	v_fma_f16 v88, v28, v131, v88
	v_mul_f16_sdwa v131, v28, v131 dst_sel:DWORD dst_unused:UNUSED_PAD src0_sel:WORD_1 src1_sel:DWORD
	v_add_f16_e32 v135, v137, v90
	s_waitcnt lgkmcnt(0)
	v_lshrrev_b32_e32 v89, 16, v57
	v_fma_f16 v28, v28, v136, -v131
	v_add_f16_e32 v131, v57, v137
	v_fma_f16 v57, v135, -0.5, v57
	v_sub_f16_e32 v135, v60, v61
	s_mov_b32 s4, 0xbaee
	s_movk_i32 s5, 0x3aee
	v_add_u32_e32 v122, 0x200, v69
	v_fma_f16 v136, v135, s4, v57
	v_fma_f16 v57, v135, s5, v57
	v_add_f16_e32 v135, v89, v60
	v_add_f16_e32 v60, v60, v61
	ds_read2_b32 v[66:67], v122 offset0:124 offset1:250
	v_add_f16_e32 v131, v131, v90
	v_add_f16_e32 v135, v135, v61
	v_fma_f16 v60, v60, -0.5, v89
	v_sub_f16_e32 v61, v137, v90
	v_add_f16_e32 v90, v120, v123
	v_lshrrev_b32_e32 v121, 16, v58
	v_fma_f16 v89, v61, s5, v60
	v_fma_f16 v60, v61, s4, v60
	v_add_f16_e32 v61, v58, v120
	v_fma_f16 v58, v90, -0.5, v58
	v_sub_f16_e32 v90, v64, v62
	v_fma_f16 v137, v90, s4, v58
	v_fma_f16 v58, v90, s5, v58
	v_add_f16_e32 v90, v121, v64
	v_add_f16_e32 v90, v90, v62
	;; [unrolled: 1-line block ×3, first 2 shown]
	v_fma_f16 v62, v62, -0.5, v121
	v_sub_f16_e32 v64, v120, v123
	v_add_f16_e32 v121, v124, v128
	s_waitcnt lgkmcnt(0)
	v_lshrrev_b32_e32 v126, 16, v66
	v_fma_f16 v120, v64, s5, v62
	v_fma_f16 v62, v64, s4, v62
	v_add_f16_e32 v64, v66, v124
	v_fma_f16 v66, v121, -0.5, v66
	v_sub_f16_e32 v121, v65, v85
	v_add_f16_e32 v61, v61, v123
	v_fma_f16 v123, v121, s4, v66
	v_fma_f16 v66, v121, s5, v66
	v_add_f16_e32 v121, v126, v65
	v_add_f16_e32 v65, v65, v85
	v_add_f16_e32 v121, v121, v85
	v_fma_f16 v65, v65, -0.5, v126
	v_sub_f16_e32 v85, v124, v128
	v_add_f16_e32 v126, v129, v132
	v_lshrrev_b32_e32 v130, 16, v67
	v_fma_f16 v124, v85, s5, v65
	v_fma_f16 v65, v85, s4, v65
	v_add_f16_e32 v85, v67, v129
	v_fma_f16 v67, v126, -0.5, v67
	v_sub_f16_e32 v126, v87, v86
	v_add_f16_e32 v64, v64, v128
	v_fma_f16 v128, v126, s4, v67
	v_fma_f16 v67, v126, s5, v67
	v_add_f16_e32 v126, v130, v87
	v_add_f16_e32 v126, v126, v86
	v_add_f16_e32 v86, v87, v86
	v_fma_f16 v86, v86, -0.5, v130
	v_sub_f16_e32 v87, v129, v132
	v_add_f16_e32 v130, v133, v88
	;; [unrolled: 15-line block ×3, first 2 shown]
	v_fma_f16 v88, v28, s5, v27
	v_fma_f16 v27, v28, s4, v27
	v_pack_b32_f16 v28, v131, v135
	v_pack_b32_f16 v89, v136, v89
	s_barrier
	ds_write2_b32 v92, v28, v89 offset1:2
	v_pack_b32_f16 v28, v57, v60
	ds_write_b32 v92, v28 offset:16
	v_pack_b32_f16 v28, v61, v90
	v_pack_b32_f16 v57, v137, v120
	ds_write2_b32 v93, v28, v57 offset1:2
	v_pack_b32_f16 v28, v58, v62
	ds_write_b32 v93, v28 offset:16
	v_pack_b32_f16 v28, v64, v121
	v_pack_b32_f16 v57, v123, v124
	ds_write2_b32 v94, v28, v57 offset1:2
	v_pack_b32_f16 v28, v66, v65
	ds_write_b32 v94, v28 offset:16
	v_pack_b32_f16 v28, v85, v126
	v_pack_b32_f16 v57, v128, v129
	ds_write2_b32 v95, v28, v57 offset1:2
	v_pack_b32_f16 v28, v67, v86
	ds_write_b32 v95, v28 offset:16
	v_pack_b32_f16 v28, v87, v130
	v_pack_b32_f16 v57, v132, v88
	v_pack_b32_f16 v27, v59, v27
	ds_write2_b32 v96, v28, v57 offset1:2
	ds_write_b32 v96, v27 offset:16
	s_waitcnt lgkmcnt(0)
	s_barrier
	ds_read2_b32 v[27:28], v69 offset1:126
	ds_read2_b32 v[57:58], v55 offset0:120 offset1:246
	ds_read2_b32 v[59:60], v68 offset0:108 offset1:234
	;; [unrolled: 1-line block ×5, first 2 shown]
	s_waitcnt lgkmcnt(4)
	v_lshrrev_b32_e32 v88, 16, v58
	v_mul_f16_sdwa v130, v29, v88 dst_sel:DWORD dst_unused:UNUSED_PAD src0_sel:WORD_1 src1_sel:DWORD
	s_waitcnt lgkmcnt(3)
	v_lshrrev_b32_e32 v89, 16, v59
	v_fma_f16 v130, v29, v58, v130
	v_mul_f16_sdwa v58, v29, v58 dst_sel:DWORD dst_unused:UNUSED_PAD src0_sel:WORD_1 src1_sel:DWORD
	v_fma_f16 v29, v29, v88, -v58
	v_mul_f16_sdwa v58, v30, v89 dst_sel:DWORD dst_unused:UNUSED_PAD src0_sel:WORD_1 src1_sel:DWORD
	s_waitcnt lgkmcnt(2)
	v_lshrrev_b32_e32 v92, 16, v61
	v_fma_f16 v58, v30, v59, v58
	v_mul_f16_sdwa v59, v30, v59 dst_sel:DWORD dst_unused:UNUSED_PAD src0_sel:WORD_1 src1_sel:DWORD
	v_fma_f16 v30, v30, v89, -v59
	v_mul_f16_sdwa v59, v31, v92 dst_sel:DWORD dst_unused:UNUSED_PAD src0_sel:WORD_1 src1_sel:DWORD
	v_lshrrev_b32_e32 v93, 16, v60
	v_fma_f16 v59, v31, v61, v59
	v_mul_f16_sdwa v61, v31, v61 dst_sel:DWORD dst_unused:UNUSED_PAD src0_sel:WORD_1 src1_sel:DWORD
	v_fma_f16 v31, v31, v92, -v61
	v_mul_f16_sdwa v61, v32, v93 dst_sel:DWORD dst_unused:UNUSED_PAD src0_sel:WORD_1 src1_sel:DWORD
	;; [unrolled: 5-line block ×3, first 2 shown]
	s_waitcnt lgkmcnt(1)
	v_lshrrev_b32_e32 v96, 16, v66
	v_fma_f16 v60, v33, v62, v60
	v_mul_f16_sdwa v62, v33, v62 dst_sel:DWORD dst_unused:UNUSED_PAD src0_sel:WORD_1 src1_sel:DWORD
	v_fma_f16 v33, v33, v95, -v62
	v_mul_f16_sdwa v62, v34, v96 dst_sel:DWORD dst_unused:UNUSED_PAD src0_sel:WORD_1 src1_sel:DWORD
	s_waitcnt lgkmcnt(0)
	v_lshrrev_b32_e32 v123, 16, v85
	v_fma_f16 v62, v34, v66, v62
	v_mul_f16_sdwa v66, v34, v66 dst_sel:DWORD dst_unused:UNUSED_PAD src0_sel:WORD_1 src1_sel:DWORD
	ds_read_b32 v121, v69 offset:7056
	v_fma_f16 v34, v34, v96, -v66
	v_mul_f16_sdwa v66, v35, v123 dst_sel:DWORD dst_unused:UNUSED_PAD src0_sel:WORD_1 src1_sel:DWORD
	v_lshrrev_b32_e32 v124, 16, v67
	v_fma_f16 v66, v35, v85, v66
	v_mul_f16_sdwa v85, v35, v85 dst_sel:DWORD dst_unused:UNUSED_PAD src0_sel:WORD_1 src1_sel:DWORD
	v_fma_f16 v35, v35, v123, -v85
	v_mul_f16_sdwa v85, v36, v124 dst_sel:DWORD dst_unused:UNUSED_PAD src0_sel:WORD_1 src1_sel:DWORD
	v_lshrrev_b32_e32 v128, 16, v86
	v_fma_f16 v85, v36, v67, v85
	v_mul_f16_sdwa v67, v36, v67 dst_sel:DWORD dst_unused:UNUSED_PAD src0_sel:WORD_1 src1_sel:DWORD
	v_fma_f16 v36, v36, v124, -v67
	v_mul_f16_sdwa v67, v37, v128 dst_sel:DWORD dst_unused:UNUSED_PAD src0_sel:WORD_1 src1_sel:DWORD
	s_waitcnt lgkmcnt(0)
	v_lshrrev_b32_e32 v129, 16, v121
	v_fma_f16 v67, v37, v86, v67
	v_mul_f16_sdwa v86, v37, v86 dst_sel:DWORD dst_unused:UNUSED_PAD src0_sel:WORD_1 src1_sel:DWORD
	v_fma_f16 v37, v37, v128, -v86
	v_mul_f16_sdwa v86, v38, v129 dst_sel:DWORD dst_unused:UNUSED_PAD src0_sel:WORD_1 src1_sel:DWORD
	v_mul_f16_sdwa v88, v38, v121 dst_sel:DWORD dst_unused:UNUSED_PAD src0_sel:WORD_1 src1_sel:DWORD
	v_add_f16_e32 v89, v130, v58
	v_lshrrev_b32_e32 v87, 16, v27
	v_fma_f16 v86, v38, v121, v86
	v_fma_f16 v38, v38, v129, -v88
	v_add_f16_e32 v88, v27, v130
	v_fma_f16 v27, v89, -0.5, v27
	v_sub_f16_e32 v89, v29, v30
	ds_read2_b32 v[64:65], v122 offset0:124 offset1:250
	v_fma_f16 v92, v89, s4, v27
	v_fma_f16 v27, v89, s5, v27
	v_add_f16_e32 v89, v87, v29
	v_add_f16_e32 v29, v29, v30
	;; [unrolled: 1-line block ×3, first 2 shown]
	v_fma_f16 v29, v29, -0.5, v87
	v_sub_f16_e32 v30, v130, v58
	v_add_f16_e32 v87, v59, v61
	v_lshrrev_b32_e32 v90, 16, v28
	v_add_f16_e32 v88, v88, v58
	v_fma_f16 v58, v30, s5, v29
	v_fma_f16 v29, v30, s4, v29
	v_add_f16_e32 v30, v28, v59
	v_fma_f16 v28, v87, -0.5, v28
	v_sub_f16_e32 v87, v31, v32
	v_fma_f16 v93, v87, s4, v28
	v_fma_f16 v28, v87, s5, v28
	v_add_f16_e32 v87, v90, v31
	v_add_f16_e32 v31, v31, v32
	;; [unrolled: 1-line block ×4, first 2 shown]
	v_fma_f16 v31, v31, -0.5, v90
	v_sub_f16_e32 v32, v59, v61
	v_add_f16_e32 v61, v60, v62
	s_waitcnt lgkmcnt(0)
	v_lshrrev_b32_e32 v94, 16, v64
	v_fma_f16 v59, v32, s5, v31
	v_fma_f16 v31, v32, s4, v31
	v_add_f16_e32 v32, v64, v60
	v_fma_f16 v61, v61, -0.5, v64
	v_sub_f16_e32 v64, v33, v34
	v_fma_f16 v90, v64, s4, v61
	v_fma_f16 v61, v64, s5, v61
	v_add_f16_e32 v64, v94, v33
	v_add_f16_e32 v33, v33, v34
	;; [unrolled: 1-line block ×4, first 2 shown]
	v_fma_f16 v33, v33, -0.5, v94
	v_sub_f16_e32 v34, v60, v62
	v_add_f16_e32 v62, v66, v85
	v_lshrrev_b32_e32 v120, 16, v65
	v_fma_f16 v60, v34, s5, v33
	v_fma_f16 v33, v34, s4, v33
	v_add_f16_e32 v34, v65, v66
	v_fma_f16 v62, v62, -0.5, v65
	v_sub_f16_e32 v65, v35, v36
	v_fma_f16 v94, v65, s4, v62
	v_fma_f16 v62, v65, s5, v62
	v_add_f16_e32 v65, v120, v35
	v_add_f16_e32 v35, v35, v36
	;; [unrolled: 1-line block ×4, first 2 shown]
	v_fma_f16 v35, v35, -0.5, v120
	v_sub_f16_e32 v36, v66, v85
	v_add_f16_e32 v85, v67, v86
	v_lshrrev_b32_e32 v126, 16, v57
	v_fma_f16 v66, v36, s5, v35
	v_fma_f16 v35, v36, s4, v35
	v_add_f16_e32 v36, v57, v67
	v_fma_f16 v57, v85, -0.5, v57
	v_sub_f16_e32 v85, v37, v38
	v_fma_f16 v95, v85, s4, v57
	v_fma_f16 v57, v85, s5, v57
	v_add_f16_e32 v85, v126, v37
	v_add_f16_e32 v37, v37, v38
	;; [unrolled: 1-line block ×3, first 2 shown]
	v_fma_f16 v37, v37, -0.5, v126
	v_sub_f16_e32 v38, v67, v86
	v_pack_b32_f16 v27, v27, v29
	v_fma_f16 v67, v38, s5, v37
	v_fma_f16 v37, v38, s4, v37
	s_barrier
	v_pack_b32_f16 v38, v88, v89
	v_pack_b32_f16 v58, v92, v58
	ds_write_b32 v97, v27 offset:48
	v_pack_b32_f16 v27, v30, v87
	v_pack_b32_f16 v29, v93, v59
	ds_write2_b32 v97, v38, v58 offset1:6
	ds_write2_b32 v98, v27, v29 offset1:6
	v_pack_b32_f16 v27, v28, v31
	ds_write_b32 v98, v27 offset:48
	v_pack_b32_f16 v27, v32, v64
	v_pack_b32_f16 v28, v90, v60
	ds_write2_b32 v99, v27, v28 offset1:6
	v_pack_b32_f16 v27, v61, v33
	ds_write_b32 v99, v27 offset:48
	v_pack_b32_f16 v27, v34, v65
	v_pack_b32_f16 v28, v94, v66
	v_add_f16_e32 v36, v36, v86
	ds_write2_b32 v100, v27, v28 offset1:6
	v_pack_b32_f16 v27, v62, v35
	ds_write_b32 v100, v27 offset:48
	v_pack_b32_f16 v27, v36, v85
	v_pack_b32_f16 v28, v95, v67
	ds_write2_b32 v101, v27, v28 offset1:6
	v_pack_b32_f16 v27, v57, v37
	ds_write_b32 v101, v27 offset:48
	s_waitcnt lgkmcnt(0)
	s_barrier
	ds_read2_b32 v[27:28], v69 offset1:126
	ds_read2_b32 v[29:30], v55 offset0:120 offset1:246
	ds_read2_b32 v[31:32], v68 offset0:108 offset1:234
	;; [unrolled: 1-line block ×5, first 2 shown]
	s_waitcnt lgkmcnt(4)
	v_lshrrev_b32_e32 v59, 16, v30
	v_mul_f16_sdwa v91, v39, v59 dst_sel:DWORD dst_unused:UNUSED_PAD src0_sel:WORD_1 src1_sel:DWORD
	s_waitcnt lgkmcnt(3)
	v_lshrrev_b32_e32 v60, 16, v31
	v_fma_f16 v91, v39, v30, v91
	v_mul_f16_sdwa v30, v39, v30 dst_sel:DWORD dst_unused:UNUSED_PAD src0_sel:WORD_1 src1_sel:DWORD
	v_fma_f16 v30, v39, v59, -v30
	v_mul_f16_sdwa v39, v40, v60 dst_sel:DWORD dst_unused:UNUSED_PAD src0_sel:WORD_1 src1_sel:DWORD
	s_waitcnt lgkmcnt(2)
	v_lshrrev_b32_e32 v62, 16, v33
	v_fma_f16 v39, v40, v31, v39
	v_mul_f16_sdwa v31, v40, v31 dst_sel:DWORD dst_unused:UNUSED_PAD src0_sel:WORD_1 src1_sel:DWORD
	v_fma_f16 v31, v40, v60, -v31
	v_mul_f16_sdwa v40, v41, v62 dst_sel:DWORD dst_unused:UNUSED_PAD src0_sel:WORD_1 src1_sel:DWORD
	v_lshrrev_b32_e32 v64, 16, v32
	v_fma_f16 v40, v41, v33, v40
	v_mul_f16_sdwa v33, v41, v33 dst_sel:DWORD dst_unused:UNUSED_PAD src0_sel:WORD_1 src1_sel:DWORD
	v_fma_f16 v33, v41, v62, -v33
	v_mul_f16_sdwa v41, v42, v64 dst_sel:DWORD dst_unused:UNUSED_PAD src0_sel:WORD_1 src1_sel:DWORD
	;; [unrolled: 5-line block ×3, first 2 shown]
	s_waitcnt lgkmcnt(1)
	v_lshrrev_b32_e32 v67, 16, v37
	v_fma_f16 v42, v47, v34, v42
	v_mul_f16_sdwa v34, v47, v34 dst_sel:DWORD dst_unused:UNUSED_PAD src0_sel:WORD_1 src1_sel:DWORD
	v_fma_f16 v34, v47, v66, -v34
	v_mul_f16_sdwa v47, v48, v67 dst_sel:DWORD dst_unused:UNUSED_PAD src0_sel:WORD_1 src1_sel:DWORD
	s_waitcnt lgkmcnt(0)
	v_lshrrev_b32_e32 v86, 16, v57
	v_fma_f16 v47, v48, v37, v47
	v_mul_f16_sdwa v37, v48, v37 dst_sel:DWORD dst_unused:UNUSED_PAD src0_sel:WORD_1 src1_sel:DWORD
	ds_read_b32 v85, v69 offset:7056
	v_fma_f16 v37, v48, v67, -v37
	v_mul_f16_sdwa v48, v45, v86 dst_sel:DWORD dst_unused:UNUSED_PAD src0_sel:WORD_1 src1_sel:DWORD
	v_lshrrev_b32_e32 v87, 16, v38
	v_fma_f16 v48, v45, v57, v48
	v_mul_f16_sdwa v57, v45, v57 dst_sel:DWORD dst_unused:UNUSED_PAD src0_sel:WORD_1 src1_sel:DWORD
	v_fma_f16 v45, v45, v86, -v57
	v_mul_f16_sdwa v57, v46, v87 dst_sel:DWORD dst_unused:UNUSED_PAD src0_sel:WORD_1 src1_sel:DWORD
	v_lshrrev_b32_e32 v89, 16, v58
	v_fma_f16 v57, v46, v38, v57
	v_mul_f16_sdwa v38, v46, v38 dst_sel:DWORD dst_unused:UNUSED_PAD src0_sel:WORD_1 src1_sel:DWORD
	v_fma_f16 v38, v46, v87, -v38
	v_mul_f16_sdwa v46, v49, v89 dst_sel:DWORD dst_unused:UNUSED_PAD src0_sel:WORD_1 src1_sel:DWORD
	s_waitcnt lgkmcnt(0)
	v_lshrrev_b32_e32 v90, 16, v85
	v_fma_f16 v46, v49, v58, v46
	v_mul_f16_sdwa v58, v49, v58 dst_sel:DWORD dst_unused:UNUSED_PAD src0_sel:WORD_1 src1_sel:DWORD
	v_fma_f16 v49, v49, v89, -v58
	v_mul_f16_sdwa v58, v50, v90 dst_sel:DWORD dst_unused:UNUSED_PAD src0_sel:WORD_1 src1_sel:DWORD
	v_mul_f16_sdwa v59, v50, v85 dst_sel:DWORD dst_unused:UNUSED_PAD src0_sel:WORD_1 src1_sel:DWORD
	v_add_f16_e32 v60, v91, v39
	v_lshrrev_b32_e32 v55, 16, v27
	v_fma_f16 v58, v50, v85, v58
	v_fma_f16 v50, v50, v90, -v59
	v_add_f16_e32 v59, v27, v91
	v_fma_f16 v27, v60, -0.5, v27
	v_sub_f16_e32 v60, v30, v31
	v_fma_f16 v62, v60, s4, v27
	v_fma_f16 v27, v60, s5, v27
	v_add_f16_e32 v60, v55, v30
	v_add_f16_e32 v30, v30, v31
	ds_read2_b32 v[35:36], v122 offset0:124 offset1:250
	v_add_f16_e32 v60, v60, v31
	v_fma_f16 v30, v30, -0.5, v55
	v_sub_f16_e32 v31, v91, v39
	v_add_f16_e32 v55, v40, v41
	v_lshrrev_b32_e32 v61, 16, v28
	v_add_f16_e32 v59, v59, v39
	v_fma_f16 v39, v31, s5, v30
	v_fma_f16 v30, v31, s4, v30
	v_add_f16_e32 v31, v28, v40
	v_fma_f16 v28, v55, -0.5, v28
	v_sub_f16_e32 v55, v33, v32
	v_fma_f16 v64, v55, s4, v28
	v_fma_f16 v28, v55, s5, v28
	v_add_f16_e32 v55, v61, v33
	v_add_f16_e32 v55, v55, v32
	;; [unrolled: 1-line block ×4, first 2 shown]
	v_fma_f16 v32, v32, -0.5, v61
	v_sub_f16_e32 v33, v40, v41
	v_add_f16_e32 v41, v42, v47
	s_waitcnt lgkmcnt(0)
	v_lshrrev_b32_e32 v65, 16, v35
	v_fma_f16 v40, v33, s5, v32
	v_fma_f16 v32, v33, s4, v32
	v_add_f16_e32 v33, v35, v42
	v_fma_f16 v35, v41, -0.5, v35
	v_sub_f16_e32 v41, v34, v37
	v_fma_f16 v61, v41, s4, v35
	v_fma_f16 v35, v41, s5, v35
	v_add_f16_e32 v41, v65, v34
	v_add_f16_e32 v34, v34, v37
	;; [unrolled: 1-line block ×3, first 2 shown]
	v_fma_f16 v34, v34, -0.5, v65
	v_sub_f16_e32 v37, v42, v47
	v_add_f16_e32 v41, v48, v57
	v_lshrrev_b32_e32 v68, 16, v36
	v_add_f16_e32 v33, v33, v47
	v_fma_f16 v47, v37, s5, v34
	v_fma_f16 v34, v37, s4, v34
	v_add_f16_e32 v37, v36, v48
	v_fma_f16 v36, v41, -0.5, v36
	v_sub_f16_e32 v41, v45, v38
	v_fma_f16 v65, v41, s4, v36
	v_fma_f16 v36, v41, s5, v36
	v_add_f16_e32 v41, v68, v45
	v_add_f16_e32 v67, v41, v38
	;; [unrolled: 1-line block ×3, first 2 shown]
	v_fma_f16 v38, v38, -0.5, v68
	v_sub_f16_e32 v41, v48, v57
	v_fma_f16 v45, v41, s5, v38
	v_fma_f16 v38, v41, s4, v38
	v_add_f16_e32 v41, v29, v46
	v_lshrrev_b32_e32 v88, 16, v29
	v_add_f16_e32 v48, v41, v58
	v_add_f16_e32 v41, v46, v58
	;; [unrolled: 1-line block ×3, first 2 shown]
	v_fma_f16 v29, v41, -0.5, v29
	v_sub_f16_e32 v41, v49, v50
	v_fma_f16 v42, v42, -0.5, v88
	v_sub_f16_e32 v46, v46, v58
	v_pack_b32_f16 v27, v27, v30
	v_add_f16_e32 v37, v37, v57
	v_fma_f16 v57, v41, s4, v29
	v_fma_f16 v41, v41, s5, v29
	v_add_f16_e32 v29, v88, v49
	v_fma_f16 v49, v46, s5, v42
	v_fma_f16 v42, v46, s4, v42
	s_barrier
	v_pack_b32_f16 v46, v59, v60
	v_pack_b32_f16 v39, v62, v39
	ds_write_b32 v102, v27 offset:144
	v_pack_b32_f16 v27, v31, v55
	v_pack_b32_f16 v30, v64, v40
	ds_write2_b32 v102, v46, v39 offset1:18
	ds_write2_b32 v103, v27, v30 offset1:18
	v_pack_b32_f16 v27, v28, v32
	ds_write_b32 v103, v27 offset:144
	v_pack_b32_f16 v27, v33, v66
	v_pack_b32_f16 v28, v61, v47
	ds_write2_b32 v104, v27, v28 offset1:18
	v_pack_b32_f16 v27, v35, v34
	ds_write_b32 v104, v27 offset:144
	v_pack_b32_f16 v27, v37, v67
	v_pack_b32_f16 v28, v65, v45
	v_add_f16_e32 v29, v29, v50
	ds_write2_b32 v105, v27, v28 offset1:18
	v_pack_b32_f16 v27, v36, v38
	ds_write_b32 v105, v27 offset:144
	v_pack_b32_f16 v27, v48, v29
	v_pack_b32_f16 v28, v57, v49
	ds_write2_b32 v106, v27, v28 offset1:18
	v_pack_b32_f16 v27, v41, v42
	v_add_u32_e32 v29, 0x400, v69
	v_add_u32_e32 v31, 0x800, v69
	;; [unrolled: 1-line block ×6, first 2 shown]
	ds_write_b32 v106, v27 offset:144
	s_waitcnt lgkmcnt(0)
	s_barrier
	ds_read2_b32 v[27:28], v69 offset1:126
	ds_read2_b32 v[29:30], v29 offset0:14 offset1:140
	ds_read2_b32 v[31:32], v31 offset0:28 offset1:154
	ds_read2_b32 v[33:34], v33 offset0:42 offset1:168
	ds_read2_b32 v[35:36], v35 offset0:56 offset1:182
	ds_read2_b32 v[37:38], v37 offset0:70 offset1:196
	ds_read2_b32 v[39:40], v39 offset0:84 offset1:210
	s_and_saveexec_b64 s[4:5], s[2:3]
	s_cbranch_execz .LBB0_19
; %bb.18:
	ds_read_b32 v41, v69 offset:1008
	ds_read_b32 v56, v69 offset:2088
	;; [unrolled: 1-line block ×7, first 2 shown]
	s_waitcnt lgkmcnt(6)
	v_lshrrev_b32_e32 v42, 16, v41
	s_waitcnt lgkmcnt(5)
	v_lshrrev_b32_e32 v63, 16, v56
	;; [unrolled: 2-line block ×7, first 2 shown]
.LBB0_19:
	s_or_b64 exec, exec, s[4:5]
	s_waitcnt lgkmcnt(5)
	v_lshrrev_b32_e32 v45, 16, v29
	v_mul_f16_sdwa v62, v4, v45 dst_sel:DWORD dst_unused:UNUSED_PAD src0_sel:WORD_1 src1_sel:DWORD
	s_waitcnt lgkmcnt(4)
	v_lshrrev_b32_e32 v46, 16, v31
	v_fma_f16 v62, v4, v29, v62
	v_mul_f16_sdwa v29, v4, v29 dst_sel:DWORD dst_unused:UNUSED_PAD src0_sel:WORD_1 src1_sel:DWORD
	v_fma_f16 v4, v4, v45, -v29
	v_mul_f16_sdwa v29, v5, v46 dst_sel:DWORD dst_unused:UNUSED_PAD src0_sel:WORD_1 src1_sel:DWORD
	v_lshrrev_b32_e32 v55, 16, v30
	v_fma_f16 v29, v5, v31, v29
	v_mul_f16_sdwa v31, v5, v31 dst_sel:DWORD dst_unused:UNUSED_PAD src0_sel:WORD_1 src1_sel:DWORD
	s_waitcnt lgkmcnt(3)
	v_lshrrev_b32_e32 v47, 16, v33
	v_fma_f16 v5, v5, v46, -v31
	v_mul_f16_sdwa v46, v8, v55 dst_sel:DWORD dst_unused:UNUSED_PAD src0_sel:WORD_1 src1_sel:DWORD
	v_lshrrev_b32_e32 v57, 16, v32
	v_mul_f16_sdwa v31, v6, v47 dst_sel:DWORD dst_unused:UNUSED_PAD src0_sel:WORD_1 src1_sel:DWORD
	v_fma_f16 v46, v8, v30, v46
	v_mul_f16_sdwa v30, v8, v30 dst_sel:DWORD dst_unused:UNUSED_PAD src0_sel:WORD_1 src1_sel:DWORD
	s_waitcnt lgkmcnt(2)
	v_lshrrev_b32_e32 v48, 16, v35
	v_fma_f16 v31, v6, v33, v31
	v_mul_f16_sdwa v33, v6, v33 dst_sel:DWORD dst_unused:UNUSED_PAD src0_sel:WORD_1 src1_sel:DWORD
	v_fma_f16 v8, v8, v55, -v30
	v_mul_f16_sdwa v30, v9, v57 dst_sel:DWORD dst_unused:UNUSED_PAD src0_sel:WORD_1 src1_sel:DWORD
	v_lshrrev_b32_e32 v58, 16, v34
	v_fma_f16 v6, v6, v47, -v33
	v_mul_f16_sdwa v33, v7, v48 dst_sel:DWORD dst_unused:UNUSED_PAD src0_sel:WORD_1 src1_sel:DWORD
	v_fma_f16 v30, v9, v32, v30
	v_mul_f16_sdwa v32, v9, v32 dst_sel:DWORD dst_unused:UNUSED_PAD src0_sel:WORD_1 src1_sel:DWORD
	s_waitcnt lgkmcnt(1)
	v_lshrrev_b32_e32 v49, 16, v37
	s_waitcnt lgkmcnt(0)
	v_lshrrev_b32_e32 v50, 16, v39
	v_fma_f16 v33, v7, v35, v33
	v_mul_f16_sdwa v35, v7, v35 dst_sel:DWORD dst_unused:UNUSED_PAD src0_sel:WORD_1 src1_sel:DWORD
	v_fma_f16 v9, v9, v57, -v32
	v_mul_f16_sdwa v32, v10, v58 dst_sel:DWORD dst_unused:UNUSED_PAD src0_sel:WORD_1 src1_sel:DWORD
	v_lshrrev_b32_e32 v59, 16, v36
	v_fma_f16 v7, v7, v48, -v35
	v_mul_f16_sdwa v35, v53, v49 dst_sel:DWORD dst_unused:UNUSED_PAD src0_sel:WORD_1 src1_sel:DWORD
	v_mul_f16_sdwa v45, v54, v50 dst_sel:DWORD dst_unused:UNUSED_PAD src0_sel:WORD_1 src1_sel:DWORD
	v_fma_f16 v32, v10, v34, v32
	v_mul_f16_sdwa v34, v10, v34 dst_sel:DWORD dst_unused:UNUSED_PAD src0_sel:WORD_1 src1_sel:DWORD
	v_fma_f16 v35, v53, v37, v35
	;; [unrolled: 2-line block ×3, first 2 shown]
	v_mul_f16_sdwa v39, v54, v39 dst_sel:DWORD dst_unused:UNUSED_PAD src0_sel:WORD_1 src1_sel:DWORD
	v_fma_f16 v10, v10, v58, -v34
	v_mul_f16_sdwa v34, v11, v59 dst_sel:DWORD dst_unused:UNUSED_PAD src0_sel:WORD_1 src1_sel:DWORD
	v_lshrrev_b32_e32 v60, 16, v38
	v_lshrrev_b32_e32 v61, 16, v40
	v_fma_f16 v37, v53, v49, -v37
	v_fma_f16 v39, v54, v50, -v39
	v_fma_f16 v34, v11, v36, v34
	v_mul_f16_sdwa v36, v11, v36 dst_sel:DWORD dst_unused:UNUSED_PAD src0_sel:WORD_1 src1_sel:DWORD
	v_fma_f16 v11, v11, v59, -v36
	v_mul_f16_sdwa v36, v51, v60 dst_sel:DWORD dst_unused:UNUSED_PAD src0_sel:WORD_1 src1_sel:DWORD
	v_mul_f16_sdwa v47, v52, v61 dst_sel:DWORD dst_unused:UNUSED_PAD src0_sel:WORD_1 src1_sel:DWORD
	v_add_f16_e32 v48, v62, v45
	v_add_f16_e32 v49, v4, v39
	v_sub_f16_e32 v4, v4, v39
	v_add_f16_e32 v39, v29, v35
	v_add_f16_e32 v50, v5, v37
	v_fma_f16 v36, v51, v38, v36
	v_mul_f16_sdwa v38, v51, v38 dst_sel:DWORD dst_unused:UNUSED_PAD src0_sel:WORD_1 src1_sel:DWORD
	v_fma_f16 v47, v52, v40, v47
	v_mul_f16_sdwa v40, v52, v40 dst_sel:DWORD dst_unused:UNUSED_PAD src0_sel:WORD_1 src1_sel:DWORD
	v_sub_f16_e32 v45, v62, v45
	v_sub_f16_e32 v29, v29, v35
	;; [unrolled: 1-line block ×3, first 2 shown]
	v_add_f16_e32 v35, v31, v33
	v_add_f16_e32 v37, v6, v7
	v_sub_f16_e32 v31, v33, v31
	v_sub_f16_e32 v6, v7, v6
	v_add_f16_e32 v7, v39, v48
	v_add_f16_e32 v33, v50, v49
	v_fma_f16 v38, v51, v60, -v38
	v_fma_f16 v40, v52, v61, -v40
	v_sub_f16_e32 v51, v39, v48
	v_sub_f16_e32 v52, v50, v49
	;; [unrolled: 1-line block ×6, first 2 shown]
	v_add_f16_e32 v53, v31, v29
	v_add_f16_e32 v54, v6, v5
	v_sub_f16_e32 v55, v31, v29
	v_sub_f16_e32 v57, v6, v5
	;; [unrolled: 1-line block ×4, first 2 shown]
	v_add_f16_e32 v7, v35, v7
	v_add_f16_e32 v33, v37, v33
	v_sub_f16_e32 v31, v45, v31
	v_sub_f16_e32 v6, v4, v6
	v_add_f16_e32 v35, v53, v45
	v_add_f16_e32 v4, v54, v4
	;; [unrolled: 1-line block ×3, first 2 shown]
	v_add_f16_sdwa v27, v27, v33 dst_sel:DWORD dst_unused:UNUSED_PAD src0_sel:WORD_1 src1_sel:DWORD
	v_mul_f16_e32 v45, 0x3a52, v48
	v_mul_f16_e32 v48, 0x3a52, v49
	s_movk_i32 s17, 0x2b26
	v_mul_f16_e32 v49, 0x2b26, v39
	v_mul_f16_e32 v53, 0x2b26, v50
	;; [unrolled: 1-line block ×4, first 2 shown]
	s_mov_b32 s6, 0xbb00
	v_mul_f16_e32 v57, 0xbb00, v29
	v_mul_f16_e32 v58, 0xbb00, v5
	s_mov_b32 s18, 0xbcab
	s_movk_i32 s7, 0x39e0
	s_mov_b32 s14, 0xb9e0
	s_mov_b32 s19, 0xb574
	s_movk_i32 s15, 0x3574
	v_fma_f16 v7, v7, s18, v37
	v_fma_f16 v33, v33, s18, v27
	;; [unrolled: 1-line block ×4, first 2 shown]
	v_fma_f16 v49, v51, s7, -v49
	v_fma_f16 v53, v52, s7, -v53
	;; [unrolled: 1-line block ×4, first 2 shown]
	v_fma_f16 v51, v31, s19, v54
	v_fma_f16 v52, v6, s19, v55
	v_fma_f16 v5, v5, s6, -v55
	v_fma_f16 v31, v31, s15, -v57
	v_fma_f16 v6, v6, s15, -v58
	s_mov_b32 s16, 0xb70e
	v_fma_f16 v29, v29, s6, -v54
	v_add_f16_e32 v39, v39, v7
	v_add_f16_e32 v50, v50, v33
	;; [unrolled: 1-line block ×6, first 2 shown]
	v_fma_f16 v45, v35, s16, v51
	v_fma_f16 v48, v4, s16, v52
	;; [unrolled: 1-line block ×6, first 2 shown]
	v_add_f16_e32 v6, v48, v39
	v_sub_f16_e32 v35, v50, v45
	v_add_f16_e32 v51, v4, v7
	v_sub_f16_e32 v52, v33, v31
	v_sub_f16_e32 v4, v7, v4
	v_add_f16_e32 v7, v31, v33
	v_sub_f16_e32 v31, v39, v48
	v_add_f16_e32 v33, v45, v50
	v_add_f16_e32 v39, v46, v47
	;; [unrolled: 1-line block ×3, first 2 shown]
	v_sub_f16_e32 v46, v46, v47
	v_sub_f16_e32 v8, v8, v40
	v_add_f16_e32 v40, v30, v36
	v_add_f16_e32 v47, v9, v38
	v_sub_f16_e32 v30, v30, v36
	v_sub_f16_e32 v9, v9, v38
	v_add_f16_e32 v36, v32, v34
	v_add_f16_e32 v38, v10, v11
	v_sub_f16_e32 v32, v34, v32
	v_sub_f16_e32 v10, v11, v10
	v_add_f16_e32 v11, v40, v39
	v_add_f16_e32 v34, v47, v45
	v_sub_f16_e32 v54, v49, v5
	v_add_f16_e32 v55, v29, v53
	v_add_f16_e32 v5, v5, v49
	v_sub_f16_e32 v29, v53, v29
	v_sub_f16_e32 v48, v40, v39
	;; [unrolled: 1-line block ×7, first 2 shown]
	v_add_f16_e32 v50, v32, v30
	v_add_f16_e32 v53, v10, v9
	v_sub_f16_e32 v57, v32, v30
	v_sub_f16_e32 v58, v10, v9
	v_add_f16_e32 v11, v36, v11
	v_add_f16_e32 v34, v38, v34
	v_sub_f16_e32 v32, v46, v32
	v_sub_f16_e32 v10, v8, v10
	;; [unrolled: 1-line block ×4, first 2 shown]
	v_add_f16_e32 v36, v50, v46
	v_add_f16_e32 v8, v53, v8
	;; [unrolled: 1-line block ×3, first 2 shown]
	v_add_f16_sdwa v28, v28, v34 dst_sel:DWORD dst_unused:UNUSED_PAD src0_sel:WORD_1 src1_sel:DWORD
	v_mul_f16_e32 v39, 0x3a52, v39
	v_mul_f16_e32 v45, 0x3a52, v45
	;; [unrolled: 1-line block ×6, first 2 shown]
	v_pack_b32_f16 v27, v37, v27
	v_pack_b32_f16 v6, v6, v35
	v_mul_f16_e32 v58, 0xbb00, v30
	v_mul_f16_e32 v59, 0xbb00, v9
	v_fma_f16 v11, v11, s18, v38
	v_fma_f16 v34, v34, s18, v28
	;; [unrolled: 1-line block ×4, first 2 shown]
	v_fma_f16 v46, v48, s7, -v46
	v_fma_f16 v50, v49, s7, -v50
	;; [unrolled: 1-line block ×4, first 2 shown]
	v_fma_f16 v48, v32, s19, v53
	v_fma_f16 v49, v10, s19, v57
	s_barrier
	ds_write2_b32 v118, v27, v6 offset1:54
	v_pack_b32_f16 v6, v51, v52
	v_pack_b32_f16 v27, v54, v55
	v_fma_f16 v30, v30, s6, -v53
	v_fma_f16 v9, v9, s6, -v57
	;; [unrolled: 1-line block ×4, first 2 shown]
	v_add_f16_e32 v40, v40, v11
	v_add_f16_e32 v47, v47, v34
	;; [unrolled: 1-line block ×6, first 2 shown]
	v_fma_f16 v39, v36, s16, v48
	v_fma_f16 v45, v8, s16, v49
	ds_write2_b32 v118, v6, v27 offset0:108 offset1:162
	v_pack_b32_f16 v5, v5, v29
	v_pack_b32_f16 v4, v4, v7
	v_add_u32_e32 v6, 0x200, v118
	v_fma_f16 v30, v36, s16, v30
	v_fma_f16 v9, v8, s16, v9
	;; [unrolled: 1-line block ×4, first 2 shown]
	v_add_f16_e32 v10, v45, v40
	v_sub_f16_e32 v36, v47, v39
	ds_write2_b32 v6, v5, v4 offset0:88 offset1:142
	v_pack_b32_f16 v4, v31, v33
	v_add_f16_e32 v48, v8, v11
	v_sub_f16_e32 v49, v34, v32
	v_sub_f16_e32 v53, v46, v9
	v_add_f16_e32 v57, v30, v50
	ds_write_b32 v118, v4 offset:1296
	v_pack_b32_f16 v4, v38, v28
	v_pack_b32_f16 v5, v10, v36
	v_add_f16_e32 v9, v9, v46
	v_sub_f16_e32 v30, v50, v30
	v_sub_f16_e32 v8, v11, v8
	v_add_f16_e32 v11, v32, v34
	ds_write2_b32 v119, v4, v5 offset1:54
	v_pack_b32_f16 v4, v48, v49
	v_pack_b32_f16 v5, v53, v57
	v_sub_f16_e32 v32, v40, v45
	v_add_f16_e32 v34, v39, v47
	ds_write2_b32 v119, v4, v5 offset0:108 offset1:162
	v_pack_b32_f16 v4, v9, v30
	v_pack_b32_f16 v5, v8, v11
	v_add_u32_e32 v6, 0x200, v119
	ds_write2_b32 v6, v4, v5 offset0:88 offset1:142
	v_pack_b32_f16 v4, v32, v34
	ds_write_b32 v119, v4 offset:1296
	s_and_saveexec_b64 s[4:5], s[2:3]
	s_cbranch_execz .LBB0_21
; %bb.20:
	v_mul_f16_sdwa v4, v0, v63 dst_sel:DWORD dst_unused:UNUSED_PAD src0_sel:WORD_1 src1_sel:DWORD
	v_mul_f16_sdwa v8, v2, v114 dst_sel:DWORD dst_unused:UNUSED_PAD src0_sel:WORD_1 src1_sel:DWORD
	;; [unrolled: 1-line block ×8, first 2 shown]
	v_fma_f16 v4, v0, v56, v4
	v_mul_f16_sdwa v5, v44, v117 dst_sel:DWORD dst_unused:UNUSED_PAD src0_sel:WORD_1 src1_sel:DWORD
	v_mul_f16_sdwa v7, v3, v115 dst_sel:DWORD dst_unused:UNUSED_PAD src0_sel:WORD_1 src1_sel:DWORD
	v_fma_f16 v8, v2, v109, v8
	v_fma_f16 v11, v1, v108, v11
	v_mul_f16_sdwa v27, v43, v113 dst_sel:DWORD dst_unused:UNUSED_PAD src0_sel:WORD_1 src1_sel:DWORD
	v_fma_f16 v31, v44, v117, -v31
	v_fma_f16 v0, v0, v63, -v32
	;; [unrolled: 1-line block ×3, first 2 shown]
	v_mul_f16_sdwa v33, v3, v110 dst_sel:DWORD dst_unused:UNUSED_PAD src0_sel:WORD_1 src1_sel:DWORD
	v_fma_f16 v35, v43, v113, -v35
	v_fma_f16 v1, v1, v111, -v36
	v_fma_f16 v5, v44, v116, v5
	v_fma_f16 v7, v3, v110, v7
	;; [unrolled: 1-line block ×3, first 2 shown]
	v_add_f16_e32 v32, v31, v0
	v_fma_f16 v3, v3, v115, -v33
	v_add_f16_e32 v36, v35, v1
	v_sub_f16_e32 v6, v4, v5
	v_sub_f16_e32 v9, v7, v8
	;; [unrolled: 1-line block ×3, first 2 shown]
	v_add_f16_e32 v33, v2, v3
	v_add_f16_e32 v39, v36, v32
	v_sub_f16_e32 v0, v0, v31
	v_sub_f16_e32 v2, v3, v2
	;; [unrolled: 1-line block ×5, first 2 shown]
	v_add_f16_e32 v9, v9, v28
	v_sub_f16_e32 v34, v32, v33
	v_sub_f16_e32 v37, v33, v36
	v_add_f16_e32 v33, v33, v39
	v_add_f16_e32 v4, v5, v4
	;; [unrolled: 1-line block ×4, first 2 shown]
	v_sub_f16_e32 v3, v0, v2
	v_sub_f16_e32 v31, v2, v1
	v_add_f16_e32 v2, v2, v1
	v_add_f16_e32 v9, v9, v6
	;; [unrolled: 1-line block ×5, first 2 shown]
	v_sub_f16_e32 v6, v28, v6
	v_sub_f16_e32 v0, v1, v0
	v_mul_f16_e32 v29, 0x3846, v29
	v_sub_f16_e32 v7, v4, v5
	v_sub_f16_e32 v11, v5, v8
	v_add_f16_e32 v5, v5, v42
	v_mul_f16_e32 v31, 0x3846, v31
	v_mul_f16_e32 v28, 0xbb00, v6
	;; [unrolled: 1-line block ×3, first 2 shown]
	v_fma_f16 v30, v10, s19, v29
	v_mul_f16_e32 v34, 0x3a52, v34
	v_mul_f16_e32 v38, 0x2b26, v37
	v_mul_f16_e32 v7, 0x3a52, v7
	v_mul_f16_e32 v27, 0x2b26, v11
	v_add_f16_e32 v41, v41, v5
	v_fma_f16 v35, v3, s19, v31
	v_fma_f16 v10, v10, s15, -v28
	v_sub_f16_e32 v28, v36, v32
	v_sub_f16_e32 v4, v8, v4
	v_fma_f16 v1, v3, s15, -v1
	v_fma_f16 v0, v0, s6, -v31
	v_fma_f16 v33, v33, s18, v39
	v_fma_f16 v11, v11, s17, v7
	;; [unrolled: 1-line block ×4, first 2 shown]
	v_fma_f16 v32, v28, s14, -v34
	v_fma_f16 v7, v4, s14, -v7
	v_fma_f16 v1, v2, s16, v1
	v_fma_f16 v8, v28, s7, -v38
	v_fma_f16 v6, v6, s6, -v29
	v_fma_f16 v0, v2, s16, v0
	v_fma_f16 v2, v4, s7, -v27
	v_fma_f16 v10, v9, s16, v10
	v_add_f16_e32 v32, v32, v33
	v_add_f16_e32 v7, v7, v5
	;; [unrolled: 1-line block ×3, first 2 shown]
	v_fma_f16 v6, v9, s16, v6
	v_add_f16_e32 v2, v2, v5
	v_fma_f16 v37, v37, s17, v34
	v_add_f16_e32 v11, v11, v5
	v_sub_f16_e32 v3, v7, v1
	v_add_f16_e32 v4, v0, v2
	v_add_f16_e32 v5, v6, v8
	v_sub_f16_e32 v0, v2, v0
	v_sub_f16_e32 v2, v32, v10
	v_add_f16_e32 v1, v1, v7
	v_fma_f16 v30, v9, s16, v30
	v_add_f16_e32 v37, v37, v33
	v_add_f16_e32 v34, v10, v32
	v_sub_f16_e32 v9, v8, v6
	v_pack_b32_f16 v1, v1, v2
	v_pack_b32_f16 v0, v0, v5
	v_add_u32_e32 v2, 0x1800, v107
	v_add_f16_e32 v40, v30, v37
	v_sub_f16_e32 v42, v11, v35
	v_sub_f16_e32 v6, v37, v30
	v_add_f16_e32 v7, v35, v11
	ds_write2_b32 v2, v1, v0 offset0:84 offset1:138
	v_pack_b32_f16 v0, v4, v9
	v_pack_b32_f16 v1, v3, v34
	;; [unrolled: 1-line block ×4, first 2 shown]
	v_add_u32_e32 v7, 0x1600, v107
	ds_write2_b32 v2, v0, v1 offset0:192 offset1:246
	v_pack_b32_f16 v0, v42, v40
	ds_write2_b32 v7, v8, v6 offset0:104 offset1:158
	ds_write_b32 v107, v0 offset:7344
.LBB0_21:
	s_or_b64 exec, exec, s[4:5]
	v_add_u32_e32 v5, 0x200, v69
	s_waitcnt lgkmcnt(0)
	s_barrier
	ds_read2_b32 v[6:7], v5 offset0:124 offset1:250
	v_add_u32_e32 v2, 0xa00, v69
	ds_read2_b32 v[8:9], v2 offset0:116 offset1:242
	v_add_u32_e32 v2, 0xe00, v69
	;; [unrolled: 2-line block ×4, first 2 shown]
	s_waitcnt lgkmcnt(3)
	v_lshrrev_b32_e32 v4, 16, v7
	ds_read2_b32 v[29:30], v3 offset0:120 offset1:246
	v_mul_f16_sdwa v47, v12, v4 dst_sel:DWORD dst_unused:UNUSED_PAD src0_sel:WORD_1 src1_sel:DWORD
	s_waitcnt lgkmcnt(3)
	v_lshrrev_b32_e32 v33, 16, v8
	s_waitcnt lgkmcnt(2)
	v_lshrrev_b32_e32 v34, 16, v11
	v_add_u32_e32 v31, 0x1200, v69
	v_fma_f16 v47, v12, v7, v47
	v_mul_f16_sdwa v7, v12, v7 dst_sel:DWORD dst_unused:UNUSED_PAD src0_sel:WORD_1 src1_sel:DWORD
	ds_read2_b32 v[31:32], v31 offset0:108 offset1:234
	v_fma_f16 v4, v12, v4, -v7
	v_mul_f16_sdwa v7, v13, v33 dst_sel:DWORD dst_unused:UNUSED_PAD src0_sel:WORD_1 src1_sel:DWORD
	v_mul_f16_sdwa v12, v14, v34 dst_sel:DWORD dst_unused:UNUSED_PAD src0_sel:WORD_1 src1_sel:DWORD
	s_waitcnt lgkmcnt(2)
	v_lshrrev_b32_e32 v35, 16, v27
	v_fma_f16 v7, v13, v8, v7
	v_mul_f16_sdwa v8, v13, v8 dst_sel:DWORD dst_unused:UNUSED_PAD src0_sel:WORD_1 src1_sel:DWORD
	v_fma_f16 v12, v14, v11, v12
	v_mul_f16_sdwa v11, v14, v11 dst_sel:DWORD dst_unused:UNUSED_PAD src0_sel:WORD_1 src1_sel:DWORD
	s_waitcnt lgkmcnt(1)
	v_lshrrev_b32_e32 v37, 16, v29
	v_fma_f16 v8, v13, v33, -v8
	v_fma_f16 v11, v14, v34, -v11
	v_mul_f16_sdwa v13, v15, v35 dst_sel:DWORD dst_unused:UNUSED_PAD src0_sel:WORD_1 src1_sel:DWORD
	v_mul_f16_sdwa v14, v15, v27 dst_sel:DWORD dst_unused:UNUSED_PAD src0_sel:WORD_1 src1_sel:DWORD
	v_lshrrev_b32_e32 v38, 16, v9
	v_fma_f16 v13, v15, v27, v13
	v_fma_f16 v14, v15, v35, -v14
	v_mul_f16_sdwa v15, v16, v37 dst_sel:DWORD dst_unused:UNUSED_PAD src0_sel:WORD_1 src1_sel:DWORD
	v_mul_f16_sdwa v27, v16, v29 dst_sel:DWORD dst_unused:UNUSED_PAD src0_sel:WORD_1 src1_sel:DWORD
	v_fma_f16 v15, v16, v29, v15
	v_fma_f16 v16, v16, v37, -v27
	v_mul_f16_sdwa v27, v17, v38 dst_sel:DWORD dst_unused:UNUSED_PAD src0_sel:WORD_1 src1_sel:DWORD
	s_waitcnt lgkmcnt(0)
	v_lshrrev_b32_e32 v39, 16, v31
	v_fma_f16 v27, v17, v9, v27
	v_mul_f16_sdwa v9, v17, v9 dst_sel:DWORD dst_unused:UNUSED_PAD src0_sel:WORD_1 src1_sel:DWORD
	v_lshrrev_b32_e32 v40, 16, v28
	v_fma_f16 v9, v17, v38, -v9
	v_mul_f16_sdwa v17, v18, v39 dst_sel:DWORD dst_unused:UNUSED_PAD src0_sel:WORD_1 src1_sel:DWORD
	v_mul_f16_sdwa v29, v18, v31 dst_sel:DWORD dst_unused:UNUSED_PAD src0_sel:WORD_1 src1_sel:DWORD
	ds_read2_b32 v[0:1], v69 offset1:126
	v_fma_f16 v17, v18, v31, v17
	v_fma_f16 v18, v18, v39, -v29
	v_mul_f16_sdwa v29, v19, v40 dst_sel:DWORD dst_unused:UNUSED_PAD src0_sel:WORD_1 src1_sel:DWORD
	ds_read_b32 v41, v69 offset:7056
	v_lshrrev_b32_e32 v43, 16, v30
	v_fma_f16 v29, v19, v28, v29
	v_mul_f16_sdwa v28, v19, v28 dst_sel:DWORD dst_unused:UNUSED_PAD src0_sel:WORD_1 src1_sel:DWORD
	v_fma_f16 v19, v19, v40, -v28
	v_mul_f16_sdwa v28, v20, v43 dst_sel:DWORD dst_unused:UNUSED_PAD src0_sel:WORD_1 src1_sel:DWORD
	v_lshrrev_b32_e32 v44, 16, v10
	v_fma_f16 v28, v20, v30, v28
	v_mul_f16_sdwa v30, v20, v30 dst_sel:DWORD dst_unused:UNUSED_PAD src0_sel:WORD_1 src1_sel:DWORD
	v_fma_f16 v20, v20, v43, -v30
	v_mul_f16_sdwa v30, v21, v44 dst_sel:DWORD dst_unused:UNUSED_PAD src0_sel:WORD_1 src1_sel:DWORD
	v_add_f16_e32 v33, v7, v12
	v_lshrrev_b32_e32 v45, 16, v32
	v_fma_f16 v30, v21, v10, v30
	v_mul_f16_sdwa v10, v21, v10 dst_sel:DWORD dst_unused:UNUSED_PAD src0_sel:WORD_1 src1_sel:DWORD
	s_waitcnt lgkmcnt(1)
	v_fma_f16 v33, v33, -0.5, v0
	v_sub_f16_e32 v34, v4, v14
	s_mov_b32 s2, 0xbb9c
	s_movk_i32 s5, 0x3b9c
	s_waitcnt lgkmcnt(0)
	v_lshrrev_b32_e32 v46, 16, v41
	v_fma_f16 v10, v21, v44, -v10
	v_mul_f16_sdwa v21, v22, v45 dst_sel:DWORD dst_unused:UNUSED_PAD src0_sel:WORD_1 src1_sel:DWORD
	v_mul_f16_sdwa v31, v22, v32 dst_sel:DWORD dst_unused:UNUSED_PAD src0_sel:WORD_1 src1_sel:DWORD
	v_fma_f16 v35, v34, s2, v33
	v_sub_f16_e32 v37, v8, v11
	s_mov_b32 s3, 0xb8b4
	v_sub_f16_e32 v38, v47, v7
	v_sub_f16_e32 v39, v13, v12
	v_fma_f16 v33, v34, s5, v33
	s_movk_i32 s6, 0x38b4
	v_fma_f16 v21, v22, v32, v21
	v_fma_f16 v22, v22, v45, -v31
	v_mul_f16_sdwa v31, v23, v46 dst_sel:DWORD dst_unused:UNUSED_PAD src0_sel:WORD_1 src1_sel:DWORD
	v_mul_f16_sdwa v32, v23, v41 dst_sel:DWORD dst_unused:UNUSED_PAD src0_sel:WORD_1 src1_sel:DWORD
	v_fma_f16 v35, v37, s3, v35
	v_add_f16_e32 v38, v38, v39
	s_movk_i32 s4, 0x34f2
	v_fma_f16 v33, v37, s6, v33
	v_fma_f16 v31, v23, v41, v31
	v_fma_f16 v23, v23, v46, -v32
	v_add_f16_e32 v32, v0, v47
	v_fma_f16 v35, v38, s4, v35
	v_fma_f16 v33, v38, s4, v33
	v_add_f16_e32 v38, v47, v13
	v_lshrrev_b32_e32 v2, 16, v0
	v_add_f16_e32 v32, v32, v7
	v_fma_f16 v0, v38, -0.5, v0
	v_add_f16_e32 v32, v32, v12
	v_fma_f16 v38, v37, s5, v0
	v_sub_f16_e32 v39, v7, v47
	v_sub_f16_e32 v40, v12, v13
	v_fma_f16 v0, v37, s2, v0
	v_add_f16_e32 v37, v8, v11
	v_add_f16_e32 v32, v32, v13
	v_fma_f16 v38, v34, s3, v38
	v_add_f16_e32 v39, v39, v40
	v_fma_f16 v0, v34, s6, v0
	v_fma_f16 v37, v37, -0.5, v2
	v_sub_f16_e32 v13, v47, v13
	v_fma_f16 v38, v39, s4, v38
	v_fma_f16 v0, v39, s4, v0
	;; [unrolled: 1-line block ×3, first 2 shown]
	v_sub_f16_e32 v7, v7, v12
	v_fma_f16 v12, v7, s6, v39
	v_sub_f16_e32 v39, v4, v8
	v_sub_f16_e32 v40, v14, v11
	v_fma_f16 v37, v13, s2, v37
	v_add_f16_e32 v39, v39, v40
	v_fma_f16 v37, v7, s3, v37
	v_fma_f16 v12, v39, s4, v12
	;; [unrolled: 1-line block ×3, first 2 shown]
	v_add_f16_e32 v39, v4, v14
	v_add_f16_e32 v34, v2, v4
	v_fma_f16 v2, v39, -0.5, v2
	v_add_f16_e32 v34, v34, v8
	v_fma_f16 v39, v7, s2, v2
	v_sub_f16_e32 v4, v8, v4
	v_sub_f16_e32 v8, v11, v14
	v_fma_f16 v2, v7, s5, v2
	v_add_f16_e32 v7, v27, v17
	v_add_f16_e32 v34, v34, v11
	v_fma_f16 v39, v13, s6, v39
	v_add_f16_e32 v4, v4, v8
	v_fma_f16 v7, v7, -0.5, v1
	v_sub_f16_e32 v11, v16, v19
	v_add_f16_e32 v34, v34, v14
	v_fma_f16 v8, v4, s4, v39
	v_fma_f16 v2, v13, s3, v2
	;; [unrolled: 1-line block ×3, first 2 shown]
	v_sub_f16_e32 v14, v9, v18
	v_sub_f16_e32 v39, v15, v27
	;; [unrolled: 1-line block ×3, first 2 shown]
	v_fma_f16 v7, v11, s5, v7
	v_fma_f16 v13, v14, s3, v13
	v_add_f16_e32 v39, v39, v40
	v_fma_f16 v7, v14, s6, v7
	v_fma_f16 v13, v39, s4, v13
	;; [unrolled: 1-line block ×3, first 2 shown]
	v_add_f16_e32 v39, v15, v29
	v_lshrrev_b32_e32 v36, 16, v1
	v_fma_f16 v2, v4, s4, v2
	v_add_f16_e32 v4, v1, v15
	v_fma_f16 v1, v39, -0.5, v1
	v_add_f16_e32 v4, v4, v27
	v_fma_f16 v39, v14, s5, v1
	v_fma_f16 v1, v14, s2, v1
	v_add_f16_e32 v14, v9, v18
	v_add_f16_e32 v4, v4, v17
	v_sub_f16_e32 v40, v27, v15
	v_sub_f16_e32 v41, v17, v29
	v_fma_f16 v14, v14, -0.5, v36
	v_sub_f16_e32 v15, v15, v29
	v_add_f16_e32 v4, v4, v29
	v_fma_f16 v39, v11, s3, v39
	v_add_f16_e32 v40, v40, v41
	v_fma_f16 v1, v11, s6, v1
	v_fma_f16 v29, v15, s5, v14
	v_sub_f16_e32 v17, v27, v17
	v_fma_f16 v39, v40, s4, v39
	v_fma_f16 v1, v40, s4, v1
	v_fma_f16 v27, v17, s6, v29
	v_sub_f16_e32 v29, v16, v9
	v_sub_f16_e32 v40, v19, v18
	v_fma_f16 v14, v15, s2, v14
	v_add_f16_e32 v29, v29, v40
	v_fma_f16 v14, v17, s3, v14
	v_fma_f16 v27, v29, s4, v27
	;; [unrolled: 1-line block ×3, first 2 shown]
	v_add_f16_e32 v29, v16, v19
	v_fma_f16 v29, v29, -0.5, v36
	v_add_f16_e32 v11, v36, v16
	v_fma_f16 v36, v17, s2, v29
	v_fma_f16 v17, v17, s5, v29
	v_add_f16_e32 v11, v11, v9
	v_fma_f16 v36, v15, s6, v36
	v_sub_f16_e32 v9, v9, v16
	v_sub_f16_e32 v16, v18, v19
	v_fma_f16 v15, v15, s3, v17
	v_add_f16_e32 v17, v30, v21
	v_add_f16_e32 v11, v11, v18
	;; [unrolled: 1-line block ×3, first 2 shown]
	v_fma_f16 v17, v17, -0.5, v6
	v_sub_f16_e32 v18, v20, v23
	v_add_f16_e32 v11, v11, v19
	v_fma_f16 v16, v9, s4, v36
	v_fma_f16 v19, v18, s2, v17
	v_sub_f16_e32 v29, v10, v22
	v_sub_f16_e32 v36, v28, v30
	;; [unrolled: 1-line block ×3, first 2 shown]
	v_fma_f16 v17, v18, s5, v17
	v_fma_f16 v19, v29, s3, v19
	v_add_f16_e32 v36, v36, v40
	v_fma_f16 v17, v29, s6, v17
	v_fma_f16 v19, v36, s4, v19
	;; [unrolled: 1-line block ×3, first 2 shown]
	v_add_f16_e32 v36, v28, v31
	v_lshrrev_b32_e32 v42, 16, v6
	v_fma_f16 v9, v9, s4, v15
	v_add_f16_e32 v15, v6, v28
	v_fma_f16 v6, v36, -0.5, v6
	v_add_f16_e32 v15, v15, v30
	v_fma_f16 v36, v29, s5, v6
	v_fma_f16 v6, v29, s2, v6
	v_add_f16_e32 v29, v10, v22
	v_add_f16_e32 v15, v15, v21
	v_sub_f16_e32 v40, v30, v28
	v_sub_f16_e32 v41, v21, v31
	v_fma_f16 v29, v29, -0.5, v42
	v_sub_f16_e32 v28, v28, v31
	v_add_f16_e32 v15, v15, v31
	v_fma_f16 v36, v18, s3, v36
	v_add_f16_e32 v40, v40, v41
	v_fma_f16 v6, v18, s6, v6
	v_fma_f16 v31, v28, s5, v29
	v_sub_f16_e32 v21, v30, v21
	v_fma_f16 v36, v40, s4, v36
	v_fma_f16 v6, v40, s4, v6
	;; [unrolled: 1-line block ×3, first 2 shown]
	v_sub_f16_e32 v31, v20, v10
	v_sub_f16_e32 v40, v23, v22
	v_fma_f16 v29, v28, s2, v29
	v_add_f16_e32 v31, v31, v40
	v_fma_f16 v29, v21, s3, v29
	v_fma_f16 v30, v31, s4, v30
	v_fma_f16 v29, v31, s4, v29
	v_add_f16_e32 v31, v20, v23
	v_add_f16_e32 v18, v42, v20
	v_fma_f16 v31, v31, -0.5, v42
	v_add_f16_e32 v18, v18, v10
	v_fma_f16 v40, v21, s2, v31
	v_sub_f16_e32 v10, v10, v20
	v_sub_f16_e32 v20, v22, v23
	v_fma_f16 v21, v21, s5, v31
	v_pack_b32_f16 v0, v0, v2
	v_fma_f16 v40, v28, s6, v40
	v_add_f16_e32 v10, v10, v20
	v_fma_f16 v21, v28, s3, v21
	ds_write_b32 v69, v0 offset:4536
	v_pack_b32_f16 v0, v33, v37
	v_add_f16_e32 v18, v18, v22
	v_fma_f16 v20, v10, s4, v40
	v_fma_f16 v10, v10, s4, v21
	v_pack_b32_f16 v21, v32, v34
	v_pack_b32_f16 v12, v35, v12
	;; [unrolled: 1-line block ×3, first 2 shown]
	ds_write_b32 v69, v0 offset:6048
	v_pack_b32_f16 v0, v4, v11
	v_pack_b32_f16 v1, v1, v9
	v_add_f16_e32 v18, v18, v23
	ds_write_b32 v69, v12 offset:1512
	ds_write_b32 v69, v8 offset:3024
	ds_write2_b32 v69, v21, v0 offset1:126
	ds_write_b32 v69, v1 offset:5040
	v_pack_b32_f16 v1, v7, v14
	ds_write_b32 v69, v1 offset:6552
	v_pack_b32_f16 v1, v15, v18
	v_pack_b32_f16 v0, v13, v27
	;; [unrolled: 1-line block ×3, first 2 shown]
	ds_write_b32 v69, v1 offset:1008
	v_pack_b32_f16 v1, v19, v30
	ds_write_b32 v69, v2 offset:3528
	ds_write2_b32 v3, v0, v1 offset0:120 offset1:246
	v_pack_b32_f16 v0, v36, v20
	ds_write_b32 v69, v0 offset:4032
	v_pack_b32_f16 v0, v6, v10
	ds_write_b32 v69, v0 offset:5544
	;; [unrolled: 2-line block ×3, first 2 shown]
	s_waitcnt lgkmcnt(0)
	s_barrier
	ds_read2_b32 v[6:7], v69 offset1:126
	s_mov_b32 s6, 0xbc011567
	s_mov_b32 s7, 0x3f41566a
	v_mad_u64_u32 v[8:9], s[2:3], s10, v26, 0
	s_waitcnt lgkmcnt(0)
	v_lshrrev_b32_e32 v4, 16, v6
	v_mul_f16_sdwa v0, v84, v4 dst_sel:DWORD dst_unused:UNUSED_PAD src0_sel:WORD_1 src1_sel:DWORD
	v_fma_f16 v0, v84, v6, v0
	v_cvt_f32_f16_e32 v0, v0
	s_movk_i32 s17, 0x1ff
	v_mov_b32_e32 v2, v9
	v_mad_u64_u32 v[9:10], s[2:3], s11, v26, v[2:3]
	v_cvt_f64_f32_e32 v[0:1], v0
	s_movk_i32 s14, 0xffe
	v_mul_f16_sdwa v6, v84, v6 dst_sel:DWORD dst_unused:UNUSED_PAD src0_sel:WORD_1 src1_sel:DWORD
	v_fma_f16 v4, v84, v4, -v6
	v_mul_f64 v[0:1], v[0:1], s[6:7]
	v_cvt_f32_f16_e32 v4, v4
	s_movk_i32 s15, 0x40f
	s_mov_b32 s16, 0x8000
	v_lshlrev_b64 v[8:9], 2, v[8:9]
	s_movk_i32 s18, 0x1000
	v_and_or_b32 v0, v1, s17, v0
	v_cmp_ne_u32_e32 vcc, 0, v0
	v_cndmask_b32_e64 v0, 0, 1, vcc
	v_lshrrev_b32_e32 v2, 8, v1
	v_bfe_u32 v10, v1, 20, 11
	v_and_or_b32 v0, v2, s14, v0
	v_sub_u32_e32 v11, 0x3f1, v10
	v_or_b32_e32 v2, 0x1000, v0
	v_med3_i32 v11, v11, 0, 13
	v_lshrrev_b32_e32 v12, v11, v2
	v_lshlrev_b32_e32 v11, v11, v12
	v_cmp_ne_u32_e32 vcc, v11, v2
	v_cndmask_b32_e64 v2, 0, 1, vcc
	v_or_b32_e32 v2, v12, v2
	v_add_u32_e32 v12, 0xfffffc10, v10
	v_lshl_or_b32 v10, v12, 12, v0
	v_cmp_gt_i32_e32 vcc, 1, v12
	v_cndmask_b32_e32 v2, v10, v2, vcc
	v_and_b32_e32 v10, 7, v2
	v_cmp_lt_i32_e32 vcc, 5, v10
	v_cmp_eq_u32_e64 s[2:3], 3, v10
	v_cvt_f64_f32_e32 v[10:11], v4
	v_lshrrev_b32_e32 v2, 2, v2
	s_or_b64 vcc, s[2:3], vcc
	v_addc_co_u32_e32 v6, vcc, 0, v2, vcc
	v_mul_f64 v[10:11], v[10:11], s[6:7]
	v_mov_b32_e32 v2, 0x7c00
	v_cmp_gt_i32_e32 vcc, 31, v12
	v_cndmask_b32_e32 v4, v2, v6, vcc
	v_cmp_ne_u32_e32 vcc, 0, v0
	v_cndmask_b32_e64 v0, 0, 1, vcc
	v_lshl_or_b32 v0, v0, 9, v2
	v_cmp_eq_u32_e32 vcc, s15, v12
	v_cndmask_b32_e32 v0, v4, v0, vcc
	v_lshrrev_b32_e32 v1, 16, v1
	v_and_or_b32 v6, v1, s16, v0
	v_and_or_b32 v0, v11, s17, v10
	v_cmp_ne_u32_e32 vcc, 0, v0
	v_cndmask_b32_e64 v0, 0, 1, vcc
	v_lshrrev_b32_e32 v1, 8, v11
	v_bfe_u32 v4, v11, 20, 11
	v_and_or_b32 v0, v1, s14, v0
	v_sub_u32_e32 v10, 0x3f1, v4
	v_or_b32_e32 v1, 0x1000, v0
	v_med3_i32 v10, v10, 0, 13
	v_lshrrev_b32_e32 v12, v10, v1
	v_lshlrev_b32_e32 v10, v10, v12
	v_cmp_ne_u32_e32 vcc, v10, v1
	v_cndmask_b32_e64 v1, 0, 1, vcc
	v_add_u32_e32 v4, 0xfffffc10, v4
	v_or_b32_e32 v1, v12, v1
	v_lshl_or_b32 v10, v4, 12, v0
	v_cmp_gt_i32_e32 vcc, 1, v4
	v_cndmask_b32_e32 v1, v10, v1, vcc
	v_and_b32_e32 v10, 7, v1
	v_cmp_lt_i32_e32 vcc, 5, v10
	v_cmp_eq_u32_e64 s[2:3], 3, v10
	v_lshrrev_b32_e32 v1, 2, v1
	s_or_b64 vcc, s[2:3], vcc
	v_addc_co_u32_e32 v1, vcc, 0, v1, vcc
	v_cmp_gt_i32_e32 vcc, 31, v4
	v_cndmask_b32_e32 v1, v2, v1, vcc
	v_cmp_ne_u32_e32 vcc, 0, v0
	v_cndmask_b32_e64 v0, 0, 1, vcc
	v_lshl_or_b32 v0, v0, 9, v2
	v_cmp_eq_u32_e32 vcc, s15, v4
	v_cndmask_b32_e32 v14, v1, v0, vcc
	v_add_u32_e32 v0, 0xb00, v69
	v_mad_u64_u32 v[12:13], s[2:3], s8, v82, 0
	ds_read2_b32 v[0:1], v0 offset0:52 offset1:241
	v_lshrrev_b32_e32 v15, 16, v11
	v_mov_b32_e32 v4, v13
	v_mad_u64_u32 v[10:11], s[2:3], s9, v82, v[4:5]
	s_waitcnt lgkmcnt(0)
	v_lshrrev_b32_e32 v4, 16, v1
	v_mul_f16_sdwa v11, v83, v4 dst_sel:DWORD dst_unused:UNUSED_PAD src0_sel:WORD_1 src1_sel:DWORD
	v_fma_f16 v11, v83, v1, v11
	v_cvt_f32_f16_e32 v11, v11
	v_mov_b32_e32 v13, v10
	v_and_or_b32 v14, v15, s16, v14
	v_and_b32_e32 v6, 0xffff, v6
	v_cvt_f64_f32_e32 v[10:11], v11
	v_lshl_or_b32 v6, v14, 16, v6
	v_mov_b32_e32 v14, s13
	v_add_co_u32_e32 v15, vcc, s12, v8
	v_mul_f64 v[10:11], v[10:11], s[6:7]
	v_addc_co_u32_e32 v14, vcc, v14, v9, vcc
	v_lshlrev_b64 v[8:9], 2, v[12:13]
	v_mul_f16_sdwa v1, v83, v1 dst_sel:DWORD dst_unused:UNUSED_PAD src0_sel:WORD_1 src1_sel:DWORD
	v_add_co_u32_e32 v8, vcc, v15, v8
	v_addc_co_u32_e32 v9, vcc, v14, v9, vcc
	global_store_dword v[8:9], v6, off
	v_and_or_b32 v6, v11, s17, v10
	v_cmp_ne_u32_e32 vcc, 0, v6
	v_cndmask_b32_e64 v6, 0, 1, vcc
	v_lshrrev_b32_e32 v10, 8, v11
	v_bfe_u32 v12, v11, 20, 11
	v_and_or_b32 v6, v10, s14, v6
	v_sub_u32_e32 v13, 0x3f1, v12
	v_or_b32_e32 v10, 0x1000, v6
	v_med3_i32 v13, v13, 0, 13
	v_lshrrev_b32_e32 v14, v13, v10
	v_lshlrev_b32_e32 v13, v13, v14
	v_cmp_ne_u32_e32 vcc, v13, v10
	v_cndmask_b32_e64 v10, 0, 1, vcc
	v_fma_f16 v1, v83, v4, -v1
	v_or_b32_e32 v10, v14, v10
	v_add_u32_e32 v14, 0xfffffc10, v12
	v_cvt_f32_f16_e32 v1, v1
	v_lshl_or_b32 v12, v14, 12, v6
	v_cmp_gt_i32_e32 vcc, 1, v14
	v_cndmask_b32_e32 v10, v12, v10, vcc
	v_and_b32_e32 v12, 7, v10
	v_cmp_lt_i32_e32 vcc, 5, v12
	v_cmp_eq_u32_e64 s[2:3], 3, v12
	v_cvt_f64_f32_e32 v[12:13], v1
	v_lshrrev_b32_e32 v4, 2, v10
	s_or_b64 vcc, s[2:3], vcc
	v_addc_co_u32_e32 v1, vcc, 0, v4, vcc
	v_mul_f64 v[12:13], v[12:13], s[6:7]
	v_cmp_gt_i32_e32 vcc, 31, v14
	v_cndmask_b32_e32 v1, v2, v1, vcc
	v_cmp_ne_u32_e32 vcc, 0, v6
	v_cndmask_b32_e64 v4, 0, 1, vcc
	v_lshl_or_b32 v4, v4, 9, v2
	v_cmp_eq_u32_e32 vcc, s15, v14
	v_cndmask_b32_e32 v1, v1, v4, vcc
	v_lshrrev_b32_e32 v4, 16, v11
	v_and_or_b32 v1, v4, s16, v1
	v_and_or_b32 v4, v13, s17, v12
	v_cmp_ne_u32_e32 vcc, 0, v4
	v_cndmask_b32_e64 v4, 0, 1, vcc
	v_lshrrev_b32_e32 v6, 8, v13
	v_bfe_u32 v10, v13, 20, 11
	v_and_or_b32 v4, v6, s14, v4
	v_sub_u32_e32 v11, 0x3f1, v10
	v_or_b32_e32 v6, 0x1000, v4
	v_med3_i32 v11, v11, 0, 13
	v_lshrrev_b32_e32 v12, v11, v6
	v_lshlrev_b32_e32 v11, v11, v12
	v_cmp_ne_u32_e32 vcc, v11, v6
	v_cndmask_b32_e64 v6, 0, 1, vcc
	v_add_u32_e32 v10, 0xfffffc10, v10
	v_or_b32_e32 v6, v12, v6
	v_lshl_or_b32 v11, v10, 12, v4
	v_cmp_gt_i32_e32 vcc, 1, v10
	v_cndmask_b32_e32 v6, v11, v6, vcc
	v_and_b32_e32 v11, 7, v6
	v_cmp_lt_i32_e32 vcc, 5, v11
	v_cmp_eq_u32_e64 s[2:3], 3, v11
	v_lshrrev_b32_e32 v6, 2, v6
	s_or_b64 vcc, s[2:3], vcc
	v_addc_co_u32_e32 v6, vcc, 0, v6, vcc
	v_cmp_gt_i32_e32 vcc, 31, v10
	v_cndmask_b32_e32 v6, v2, v6, vcc
	v_cmp_ne_u32_e32 vcc, 0, v4
	v_cndmask_b32_e64 v4, 0, 1, vcc
	v_lshl_or_b32 v4, v4, 9, v2
	v_cmp_eq_u32_e32 vcc, s15, v10
	v_cndmask_b32_e32 v4, v6, v4, vcc
	v_lshrrev_b32_e32 v6, 16, v13
	v_and_or_b32 v4, v6, s16, v4
	v_lshrrev_b32_e32 v6, 16, v7
	v_mul_f16_sdwa v10, v81, v6 dst_sel:DWORD dst_unused:UNUSED_PAD src0_sel:WORD_1 src1_sel:DWORD
	v_fma_f16 v10, v81, v7, v10
	v_cvt_f32_f16_e32 v10, v10
	s_mul_i32 s2, s9, 0x3b1
	s_mul_hi_u32 s3, s8, 0x3b1
	s_add_i32 s3, s3, s2
	v_cvt_f64_f32_e32 v[10:11], v10
	s_mul_i32 s2, s8, 0x3b1
	v_and_b32_e32 v1, 0xffff, v1
	s_lshl_b64 s[10:11], s[2:3], 2
	v_mul_f64 v[10:11], v[10:11], s[6:7]
	v_lshl_or_b32 v4, v4, 16, v1
	v_mov_b32_e32 v1, s11
	v_add_co_u32_e32 v8, vcc, s10, v8
	v_addc_co_u32_e32 v9, vcc, v9, v1, vcc
	global_store_dword v[8:9], v4, off
	v_and_or_b32 v4, v11, s17, v10
	v_mul_f16_sdwa v7, v81, v7 dst_sel:DWORD dst_unused:UNUSED_PAD src0_sel:WORD_1 src1_sel:DWORD
	v_cmp_ne_u32_e32 vcc, 0, v4
	v_fma_f16 v6, v81, v6, -v7
	v_cndmask_b32_e64 v4, 0, 1, vcc
	v_lshrrev_b32_e32 v10, 8, v11
	v_bfe_u32 v12, v11, 20, 11
	v_cvt_f32_f16_e32 v6, v6
	v_and_or_b32 v4, v10, s14, v4
	v_sub_u32_e32 v13, 0x3f1, v12
	v_or_b32_e32 v10, 0x1000, v4
	v_med3_i32 v13, v13, 0, 13
	v_lshrrev_b32_e32 v14, v13, v10
	v_lshlrev_b32_e32 v13, v13, v14
	v_cvt_f64_f32_e32 v[6:7], v6
	v_cmp_ne_u32_e32 vcc, v13, v10
	v_cndmask_b32_e64 v10, 0, 1, vcc
	v_add_u32_e32 v12, 0xfffffc10, v12
	v_or_b32_e32 v10, v14, v10
	v_lshl_or_b32 v13, v12, 12, v4
	v_cmp_gt_i32_e32 vcc, 1, v12
	v_cndmask_b32_e32 v10, v13, v10, vcc
	v_mul_f64 v[6:7], v[6:7], s[6:7]
	v_and_b32_e32 v13, 7, v10
	v_cmp_lt_i32_e32 vcc, 5, v13
	v_cmp_eq_u32_e64 s[2:3], 3, v13
	v_lshrrev_b32_e32 v10, 2, v10
	s_or_b64 vcc, s[2:3], vcc
	v_addc_co_u32_e32 v10, vcc, 0, v10, vcc
	v_cmp_gt_i32_e32 vcc, 31, v12
	v_cndmask_b32_e32 v10, v2, v10, vcc
	v_cmp_ne_u32_e32 vcc, 0, v4
	v_cndmask_b32_e64 v4, 0, 1, vcc
	v_lshl_or_b32 v4, v4, 9, v2
	v_cmp_eq_u32_e32 vcc, s15, v12
	v_and_or_b32 v6, v7, s17, v6
	v_cndmask_b32_e32 v4, v10, v4, vcc
	v_lshrrev_b32_e32 v10, 16, v11
	v_cmp_ne_u32_e32 vcc, 0, v6
	v_and_or_b32 v4, v10, s16, v4
	v_cndmask_b32_e64 v6, 0, 1, vcc
	v_lshrrev_b32_e32 v10, 8, v7
	v_bfe_u32 v11, v7, 20, 11
	v_and_or_b32 v6, v10, s14, v6
	v_sub_u32_e32 v12, 0x3f1, v11
	v_or_b32_e32 v10, 0x1000, v6
	v_med3_i32 v12, v12, 0, 13
	v_lshrrev_b32_e32 v13, v12, v10
	v_lshlrev_b32_e32 v12, v12, v13
	v_cmp_ne_u32_e32 vcc, v12, v10
	v_cndmask_b32_e64 v10, 0, 1, vcc
	v_add_u32_e32 v12, 0xfffffc10, v11
	v_or_b32_e32 v10, v13, v10
	v_lshl_or_b32 v11, v12, 12, v6
	v_cmp_gt_i32_e32 vcc, 1, v12
	v_cndmask_b32_e32 v10, v11, v10, vcc
	v_and_b32_e32 v11, 7, v10
	v_cmp_lt_i32_e32 vcc, 5, v11
	v_cmp_eq_u32_e64 s[2:3], 3, v11
	v_lshrrev_b32_e32 v10, 2, v10
	s_or_b64 vcc, s[2:3], vcc
	v_addc_co_u32_e32 v10, vcc, 0, v10, vcc
	v_cmp_gt_i32_e32 vcc, 31, v12
	v_cndmask_b32_e32 v13, v2, v10, vcc
	v_add_u32_e32 v10, 0x1000, v69
	ds_read2_b32 v[10:11], v10 offset0:47 offset1:173
	v_cmp_ne_u32_e32 vcc, 0, v6
	v_cndmask_b32_e64 v6, 0, 1, vcc
	v_lshl_or_b32 v6, v6, 9, v2
	v_cmp_eq_u32_e32 vcc, s15, v12
	v_cndmask_b32_e32 v6, v13, v6, vcc
	v_lshrrev_b32_e32 v7, 16, v7
	s_waitcnt lgkmcnt(0)
	v_lshrrev_b32_e32 v13, 16, v10
	v_and_or_b32 v12, v7, s16, v6
	v_mul_f16_sdwa v6, v80, v13 dst_sel:DWORD dst_unused:UNUSED_PAD src0_sel:WORD_1 src1_sel:DWORD
	v_fma_f16 v6, v80, v10, v6
	v_cvt_f32_f16_e32 v6, v6
	s_mul_hi_u32 s3, s8, 0xfffffccd
	s_mul_i32 s2, s9, 0xfffffccd
	s_sub_i32 s3, s3, s8
	v_cvt_f64_f32_e32 v[6:7], v6
	s_add_i32 s3, s3, s2
	s_mul_i32 s2, s8, 0xfffffccd
	v_and_b32_e32 v4, 0xffff, v4
	v_mul_f64 v[6:7], v[6:7], s[6:7]
	s_lshl_b64 s[4:5], s[2:3], 2
	v_lshl_or_b32 v12, v12, 16, v4
	v_mov_b32_e32 v4, s5
	v_add_co_u32_e32 v8, vcc, s4, v8
	v_addc_co_u32_e32 v9, vcc, v9, v4, vcc
	v_and_or_b32 v6, v7, s17, v6
	v_cmp_ne_u32_e32 vcc, 0, v6
	global_store_dword v[8:9], v12, off
	v_cndmask_b32_e64 v6, 0, 1, vcc
	v_lshrrev_b32_e32 v12, 8, v7
	v_bfe_u32 v14, v7, 20, 11
	v_and_or_b32 v6, v12, s14, v6
	v_sub_u32_e32 v15, 0x3f1, v14
	v_or_b32_e32 v12, 0x1000, v6
	v_med3_i32 v15, v15, 0, 13
	v_lshrrev_b32_e32 v16, v15, v12
	v_lshlrev_b32_e32 v15, v15, v16
	v_mul_f16_sdwa v10, v80, v10 dst_sel:DWORD dst_unused:UNUSED_PAD src0_sel:WORD_1 src1_sel:DWORD
	v_cmp_ne_u32_e32 vcc, v15, v12
	v_fma_f16 v10, v80, v13, -v10
	v_cndmask_b32_e64 v12, 0, 1, vcc
	v_add_u32_e32 v14, 0xfffffc10, v14
	v_cvt_f32_f16_e32 v10, v10
	v_or_b32_e32 v12, v16, v12
	v_lshl_or_b32 v15, v14, 12, v6
	v_cmp_gt_i32_e32 vcc, 1, v14
	v_cndmask_b32_e32 v12, v15, v12, vcc
	v_and_b32_e32 v15, 7, v12
	v_cmp_lt_i32_e32 vcc, 5, v15
	v_cmp_eq_u32_e64 s[2:3], 3, v15
	v_lshrrev_b32_e32 v15, 2, v12
	v_cvt_f64_f32_e32 v[12:13], v10
	s_or_b64 vcc, s[2:3], vcc
	v_addc_co_u32_e32 v10, vcc, 0, v15, vcc
	v_mul_f64 v[12:13], v[12:13], s[6:7]
	v_cmp_gt_i32_e32 vcc, 31, v14
	v_cndmask_b32_e32 v10, v2, v10, vcc
	v_cmp_ne_u32_e32 vcc, 0, v6
	v_cndmask_b32_e64 v6, 0, 1, vcc
	v_lshl_or_b32 v6, v6, 9, v2
	v_cmp_eq_u32_e32 vcc, s15, v14
	v_cndmask_b32_e32 v6, v10, v6, vcc
	v_lshrrev_b32_e32 v7, 16, v7
	v_and_or_b32 v7, v7, s16, v6
	v_and_or_b32 v6, v13, s17, v12
	v_cmp_ne_u32_e32 vcc, 0, v6
	v_cndmask_b32_e64 v6, 0, 1, vcc
	v_lshrrev_b32_e32 v10, 8, v13
	v_bfe_u32 v12, v13, 20, 11
	v_and_or_b32 v10, v10, s14, v6
	v_sub_u32_e32 v14, 0x3f1, v12
	v_or_b32_e32 v6, 0x1000, v10
	v_med3_i32 v14, v14, 0, 13
	v_lshrrev_b32_e32 v15, v14, v6
	v_lshlrev_b32_e32 v14, v14, v15
	v_cmp_ne_u32_e32 vcc, v14, v6
	v_cndmask_b32_e64 v6, 0, 1, vcc
	v_add_u32_e32 v12, 0xfffffc10, v12
	v_or_b32_e32 v6, v15, v6
	v_lshl_or_b32 v14, v12, 12, v10
	v_cmp_gt_i32_e32 vcc, 1, v12
	v_cndmask_b32_e32 v6, v14, v6, vcc
	v_and_b32_e32 v14, 7, v6
	v_cmp_lt_i32_e32 vcc, 5, v14
	v_cmp_eq_u32_e64 s[2:3], 3, v14
	v_lshrrev_b32_e32 v14, 2, v6
	ds_read2_b32 v[5:6], v5 offset0:124 offset1:250
	s_or_b64 vcc, s[2:3], vcc
	v_addc_co_u32_e32 v14, vcc, 0, v14, vcc
	v_cmp_gt_i32_e32 vcc, 31, v12
	s_waitcnt lgkmcnt(0)
	v_lshrrev_b32_e32 v17, 16, v5
	v_cndmask_b32_e32 v16, v2, v14, vcc
	v_mul_f16_sdwa v14, v79, v17 dst_sel:DWORD dst_unused:UNUSED_PAD src0_sel:WORD_1 src1_sel:DWORD
	v_fma_f16 v14, v79, v5, v14
	v_cvt_f32_f16_e32 v14, v14
	v_cmp_ne_u32_e32 vcc, 0, v10
	v_cndmask_b32_e64 v10, 0, 1, vcc
	v_lshl_or_b32 v10, v10, 9, v2
	v_cvt_f64_f32_e32 v[14:15], v14
	v_cmp_eq_u32_e32 vcc, s15, v12
	v_cndmask_b32_e32 v10, v16, v10, vcc
	v_lshrrev_b32_e32 v12, 16, v13
	v_and_or_b32 v10, v12, s16, v10
	v_mul_f64 v[12:13], v[14:15], s[6:7]
	v_and_b32_e32 v7, 0xffff, v7
	v_lshl_or_b32 v10, v10, 16, v7
	v_add_co_u32_e32 v7, vcc, s10, v8
	v_addc_co_u32_e32 v8, vcc, v9, v1, vcc
	global_store_dword v[7:8], v10, off
	v_and_or_b32 v9, v13, s17, v12
	v_cmp_ne_u32_e32 vcc, 0, v9
	v_cndmask_b32_e64 v9, 0, 1, vcc
	v_lshrrev_b32_e32 v10, 8, v13
	v_and_or_b32 v12, v10, s14, v9
	v_bfe_u32 v10, v13, 20, 11
	v_sub_u32_e32 v14, 0x3f1, v10
	v_or_b32_e32 v9, 0x1000, v12
	v_med3_i32 v14, v14, 0, 13
	v_lshrrev_b32_e32 v15, v14, v9
	v_lshlrev_b32_e32 v14, v14, v15
	v_mul_f16_sdwa v5, v79, v5 dst_sel:DWORD dst_unused:UNUSED_PAD src0_sel:WORD_1 src1_sel:DWORD
	v_cmp_ne_u32_e32 vcc, v14, v9
	v_fma_f16 v5, v79, v17, -v5
	v_cndmask_b32_e64 v9, 0, 1, vcc
	v_add_u32_e32 v14, 0xfffffc10, v10
	v_cvt_f32_f16_e32 v5, v5
	v_or_b32_e32 v9, v15, v9
	v_lshl_or_b32 v10, v14, 12, v12
	v_cmp_gt_i32_e32 vcc, 1, v14
	v_cndmask_b32_e32 v9, v10, v9, vcc
	v_and_b32_e32 v10, 7, v9
	v_cmp_lt_i32_e32 vcc, 5, v10
	v_cmp_eq_u32_e64 s[2:3], 3, v10
	v_lshrrev_b32_e32 v15, 2, v9
	v_cvt_f64_f32_e32 v[9:10], v5
	s_or_b64 vcc, s[2:3], vcc
	v_addc_co_u32_e32 v5, vcc, 0, v15, vcc
	v_mul_f64 v[9:10], v[9:10], s[6:7]
	v_cmp_gt_i32_e32 vcc, 31, v14
	v_cndmask_b32_e32 v5, v2, v5, vcc
	v_cmp_ne_u32_e32 vcc, 0, v12
	v_cndmask_b32_e64 v12, 0, 1, vcc
	v_lshl_or_b32 v12, v12, 9, v2
	v_cmp_eq_u32_e32 vcc, s15, v14
	v_cndmask_b32_e32 v5, v5, v12, vcc
	v_and_or_b32 v9, v10, s17, v9
	v_lshrrev_b32_e32 v12, 16, v13
	v_cmp_ne_u32_e32 vcc, 0, v9
	v_and_or_b32 v5, v12, s16, v5
	v_cndmask_b32_e64 v9, 0, 1, vcc
	v_lshrrev_b32_e32 v12, 8, v10
	v_bfe_u32 v13, v10, 20, 11
	v_and_or_b32 v9, v12, s14, v9
	v_sub_u32_e32 v14, 0x3f1, v13
	v_or_b32_e32 v12, 0x1000, v9
	v_med3_i32 v14, v14, 0, 13
	v_lshrrev_b32_e32 v15, v14, v12
	v_lshlrev_b32_e32 v14, v14, v15
	v_cmp_ne_u32_e32 vcc, v14, v12
	v_cndmask_b32_e64 v12, 0, 1, vcc
	v_add_u32_e32 v14, 0xfffffc10, v13
	v_or_b32_e32 v12, v15, v12
	v_lshl_or_b32 v13, v14, 12, v9
	v_cmp_gt_i32_e32 vcc, 1, v14
	v_cndmask_b32_e32 v12, v13, v12, vcc
	v_and_b32_e32 v13, 7, v12
	v_cmp_lt_i32_e32 vcc, 5, v13
	v_cmp_eq_u32_e64 s[2:3], 3, v13
	v_lshrrev_b32_e32 v12, 2, v12
	s_or_b64 vcc, s[2:3], vcc
	v_addc_co_u32_e32 v12, vcc, 0, v12, vcc
	v_cmp_gt_i32_e32 vcc, 31, v14
	v_lshrrev_b32_e32 v16, 16, v11
	v_cndmask_b32_e32 v15, v2, v12, vcc
	v_mul_f16_sdwa v12, v78, v16 dst_sel:DWORD dst_unused:UNUSED_PAD src0_sel:WORD_1 src1_sel:DWORD
	v_fma_f16 v12, v78, v11, v12
	v_cvt_f32_f16_e32 v12, v12
	v_cmp_ne_u32_e32 vcc, 0, v9
	v_cndmask_b32_e64 v9, 0, 1, vcc
	v_lshl_or_b32 v9, v9, 9, v2
	v_cvt_f64_f32_e32 v[12:13], v12
	v_cmp_eq_u32_e32 vcc, s15, v14
	v_cndmask_b32_e32 v9, v15, v9, vcc
	v_lshrrev_b32_e32 v10, 16, v10
	v_and_or_b32 v14, v10, s16, v9
	v_mul_f64 v[9:10], v[12:13], s[6:7]
	v_and_b32_e32 v5, 0xffff, v5
	v_add_co_u32_e32 v7, vcc, s4, v7
	v_lshl_or_b32 v5, v14, 16, v5
	v_addc_co_u32_e32 v8, vcc, v8, v4, vcc
	global_store_dword v[7:8], v5, off
	v_and_or_b32 v5, v10, s17, v9
	v_cmp_ne_u32_e32 vcc, 0, v5
	v_cndmask_b32_e64 v5, 0, 1, vcc
	v_lshrrev_b32_e32 v9, 8, v10
	v_bfe_u32 v12, v10, 20, 11
	v_and_or_b32 v5, v9, s14, v5
	v_sub_u32_e32 v13, 0x3f1, v12
	v_or_b32_e32 v9, 0x1000, v5
	v_med3_i32 v13, v13, 0, 13
	v_lshrrev_b32_e32 v14, v13, v9
	v_lshlrev_b32_e32 v13, v13, v14
	v_mul_f16_sdwa v11, v78, v11 dst_sel:DWORD dst_unused:UNUSED_PAD src0_sel:WORD_1 src1_sel:DWORD
	v_cmp_ne_u32_e32 vcc, v13, v9
	v_fma_f16 v11, v78, v16, -v11
	v_cndmask_b32_e64 v9, 0, 1, vcc
	v_add_u32_e32 v13, 0xfffffc10, v12
	v_cvt_f32_f16_e32 v11, v11
	v_or_b32_e32 v9, v14, v9
	v_lshl_or_b32 v12, v13, 12, v5
	v_cmp_gt_i32_e32 vcc, 1, v13
	v_cndmask_b32_e32 v9, v12, v9, vcc
	v_and_b32_e32 v12, 7, v9
	v_cmp_lt_i32_e32 vcc, 5, v12
	v_cmp_eq_u32_e64 s[2:3], 3, v12
	v_cvt_f64_f32_e32 v[11:12], v11
	v_lshrrev_b32_e32 v9, 2, v9
	s_or_b64 vcc, s[2:3], vcc
	v_addc_co_u32_e32 v9, vcc, 0, v9, vcc
	v_mul_f64 v[11:12], v[11:12], s[6:7]
	v_cmp_gt_i32_e32 vcc, 31, v13
	v_cndmask_b32_e32 v9, v2, v9, vcc
	v_cmp_ne_u32_e32 vcc, 0, v5
	v_cndmask_b32_e64 v5, 0, 1, vcc
	v_lshl_or_b32 v5, v5, 9, v2
	v_cmp_eq_u32_e32 vcc, s15, v13
	v_cndmask_b32_e32 v5, v9, v5, vcc
	v_lshrrev_b32_e32 v9, 16, v10
	v_and_or_b32 v5, v9, s16, v5
	v_and_or_b32 v9, v12, s17, v11
	v_cmp_ne_u32_e32 vcc, 0, v9
	v_cndmask_b32_e64 v9, 0, 1, vcc
	v_lshrrev_b32_e32 v10, 8, v12
	v_bfe_u32 v11, v12, 20, 11
	v_and_or_b32 v9, v10, s14, v9
	v_sub_u32_e32 v13, 0x3f1, v11
	v_or_b32_e32 v10, 0x1000, v9
	v_med3_i32 v13, v13, 0, 13
	v_lshrrev_b32_e32 v14, v13, v10
	v_lshlrev_b32_e32 v13, v13, v14
	v_cmp_ne_u32_e32 vcc, v13, v10
	v_cndmask_b32_e64 v10, 0, 1, vcc
	v_add_u32_e32 v11, 0xfffffc10, v11
	v_or_b32_e32 v10, v14, v10
	v_lshl_or_b32 v13, v11, 12, v9
	v_cmp_gt_i32_e32 vcc, 1, v11
	v_cndmask_b32_e32 v10, v13, v10, vcc
	v_and_b32_e32 v13, 7, v10
	v_cmp_lt_i32_e32 vcc, 5, v13
	v_cmp_eq_u32_e64 s[2:3], 3, v13
	v_lshrrev_b32_e32 v10, 2, v10
	s_or_b64 vcc, s[2:3], vcc
	v_addc_co_u32_e32 v10, vcc, 0, v10, vcc
	v_cmp_gt_i32_e32 vcc, 31, v11
	v_lshrrev_b32_e32 v14, 16, v6
	v_cndmask_b32_e32 v13, v2, v10, vcc
	v_mul_f16_sdwa v10, v77, v14 dst_sel:DWORD dst_unused:UNUSED_PAD src0_sel:WORD_1 src1_sel:DWORD
	v_fma_f16 v10, v77, v6, v10
	v_cvt_f32_f16_e32 v10, v10
	v_cmp_ne_u32_e32 vcc, 0, v9
	v_cndmask_b32_e64 v9, 0, 1, vcc
	v_lshl_or_b32 v15, v9, 9, v2
	v_cvt_f64_f32_e32 v[9:10], v10
	v_cmp_eq_u32_e32 vcc, s15, v11
	v_cndmask_b32_e32 v11, v13, v15, vcc
	v_lshrrev_b32_e32 v12, 16, v12
	v_mul_f64 v[9:10], v[9:10], s[6:7]
	v_and_or_b32 v11, v12, s16, v11
	v_and_b32_e32 v5, 0xffff, v5
	v_add_co_u32_e32 v7, vcc, s10, v7
	v_lshl_or_b32 v5, v11, 16, v5
	v_addc_co_u32_e32 v8, vcc, v8, v1, vcc
	global_store_dword v[7:8], v5, off
	v_and_or_b32 v5, v10, s17, v9
	v_cmp_ne_u32_e32 vcc, 0, v5
	v_cndmask_b32_e64 v5, 0, 1, vcc
	v_lshrrev_b32_e32 v9, 8, v10
	v_bfe_u32 v11, v10, 20, 11
	v_and_or_b32 v9, v9, s14, v5
	v_sub_u32_e32 v12, 0x3f1, v11
	v_or_b32_e32 v5, 0x1000, v9
	v_med3_i32 v12, v12, 0, 13
	v_lshrrev_b32_e32 v13, v12, v5
	v_lshlrev_b32_e32 v12, v12, v13
	v_mul_f16_sdwa v6, v77, v6 dst_sel:DWORD dst_unused:UNUSED_PAD src0_sel:WORD_1 src1_sel:DWORD
	v_cmp_ne_u32_e32 vcc, v12, v5
	v_fma_f16 v6, v77, v14, -v6
	v_cndmask_b32_e64 v5, 0, 1, vcc
	v_add_u32_e32 v11, 0xfffffc10, v11
	v_cvt_f32_f16_e32 v6, v6
	v_or_b32_e32 v5, v13, v5
	v_lshl_or_b32 v12, v11, 12, v9
	v_cmp_gt_i32_e32 vcc, 1, v11
	v_cndmask_b32_e32 v5, v12, v5, vcc
	v_and_b32_e32 v12, 7, v5
	v_cmp_lt_i32_e32 vcc, 5, v12
	v_cmp_eq_u32_e64 s[2:3], 3, v12
	v_lshrrev_b32_e32 v12, 2, v5
	v_cvt_f64_f32_e32 v[5:6], v6
	s_or_b64 vcc, s[2:3], vcc
	v_addc_co_u32_e32 v12, vcc, 0, v12, vcc
	v_mul_f64 v[5:6], v[5:6], s[6:7]
	v_cmp_gt_i32_e32 vcc, 31, v11
	v_cndmask_b32_e32 v12, v2, v12, vcc
	v_cmp_ne_u32_e32 vcc, 0, v9
	v_cndmask_b32_e64 v9, 0, 1, vcc
	v_lshl_or_b32 v9, v9, 9, v2
	v_cmp_eq_u32_e32 vcc, s15, v11
	v_cndmask_b32_e32 v9, v12, v9, vcc
	v_and_or_b32 v5, v6, s17, v5
	v_lshrrev_b32_e32 v10, 16, v10
	v_cmp_ne_u32_e32 vcc, 0, v5
	v_and_or_b32 v13, v10, s16, v9
	v_cndmask_b32_e64 v5, 0, 1, vcc
	v_lshrrev_b32_e32 v9, 8, v6
	v_bfe_u32 v10, v6, 20, 11
	v_and_or_b32 v5, v9, s14, v5
	v_sub_u32_e32 v11, 0x3f1, v10
	v_or_b32_e32 v9, 0x1000, v5
	v_med3_i32 v11, v11, 0, 13
	v_lshrrev_b32_e32 v12, v11, v9
	v_lshlrev_b32_e32 v11, v11, v12
	v_cmp_ne_u32_e32 vcc, v11, v9
	v_cndmask_b32_e64 v9, 0, 1, vcc
	v_add_u32_e32 v14, 0xfffffc10, v10
	v_or_b32_e32 v9, v12, v9
	v_lshl_or_b32 v10, v14, 12, v5
	v_cmp_gt_i32_e32 vcc, 1, v14
	v_cndmask_b32_e32 v9, v10, v9, vcc
	v_and_b32_e32 v10, 7, v9
	v_lshrrev_b32_e32 v11, 2, v9
	v_add_u32_e32 v9, 0x1400, v69
	v_cmp_lt_i32_e32 vcc, 5, v10
	v_cmp_eq_u32_e64 s[2:3], 3, v10
	ds_read2_b32 v[9:10], v9 offset0:43 offset1:169
	s_or_b64 vcc, s[2:3], vcc
	v_addc_co_u32_e32 v11, vcc, 0, v11, vcc
	v_cmp_gt_i32_e32 vcc, 31, v14
	s_waitcnt lgkmcnt(0)
	v_lshrrev_b32_e32 v16, 16, v9
	v_cndmask_b32_e32 v15, v2, v11, vcc
	v_mul_f16_sdwa v11, v76, v16 dst_sel:DWORD dst_unused:UNUSED_PAD src0_sel:WORD_1 src1_sel:DWORD
	v_fma_f16 v11, v76, v9, v11
	v_cvt_f32_f16_e32 v11, v11
	v_cmp_ne_u32_e32 vcc, 0, v5
	v_cndmask_b32_e64 v5, 0, 1, vcc
	v_lshl_or_b32 v5, v5, 9, v2
	v_cvt_f64_f32_e32 v[11:12], v11
	v_cmp_eq_u32_e32 vcc, s15, v14
	v_cndmask_b32_e32 v5, v15, v5, vcc
	v_lshrrev_b32_e32 v6, 16, v6
	v_and_or_b32 v14, v6, s16, v5
	v_mul_f64 v[5:6], v[11:12], s[6:7]
	v_add_co_u32_e32 v7, vcc, s4, v7
	v_and_b32_e32 v11, 0xffff, v13
	v_addc_co_u32_e32 v8, vcc, v8, v4, vcc
	v_lshl_or_b32 v11, v14, 16, v11
	global_store_dword v[7:8], v11, off
	v_and_or_b32 v5, v6, s17, v5
	v_cmp_ne_u32_e32 vcc, 0, v5
	v_cndmask_b32_e64 v5, 0, 1, vcc
	v_lshrrev_b32_e32 v11, 8, v6
	v_bfe_u32 v12, v6, 20, 11
	v_and_or_b32 v5, v11, s14, v5
	v_sub_u32_e32 v13, 0x3f1, v12
	v_or_b32_e32 v11, 0x1000, v5
	v_med3_i32 v13, v13, 0, 13
	v_lshrrev_b32_e32 v14, v13, v11
	v_lshlrev_b32_e32 v13, v13, v14
	v_mul_f16_sdwa v9, v76, v9 dst_sel:DWORD dst_unused:UNUSED_PAD src0_sel:WORD_1 src1_sel:DWORD
	v_cmp_ne_u32_e32 vcc, v13, v11
	v_fma_f16 v9, v76, v16, -v9
	v_cndmask_b32_e64 v11, 0, 1, vcc
	v_add_u32_e32 v13, 0xfffffc10, v12
	v_cvt_f32_f16_e32 v9, v9
	v_or_b32_e32 v11, v14, v11
	v_lshl_or_b32 v12, v13, 12, v5
	v_cmp_gt_i32_e32 vcc, 1, v13
	v_cndmask_b32_e32 v11, v12, v11, vcc
	v_and_b32_e32 v12, 7, v11
	v_cmp_lt_i32_e32 vcc, 5, v12
	v_cmp_eq_u32_e64 s[2:3], 3, v12
	v_lshrrev_b32_e32 v14, 2, v11
	v_cvt_f64_f32_e32 v[11:12], v9
	s_or_b64 vcc, s[2:3], vcc
	v_addc_co_u32_e32 v9, vcc, 0, v14, vcc
	v_mul_f64 v[11:12], v[11:12], s[6:7]
	v_cmp_gt_i32_e32 vcc, 31, v13
	v_cndmask_b32_e32 v9, v2, v9, vcc
	v_cmp_ne_u32_e32 vcc, 0, v5
	v_cndmask_b32_e64 v5, 0, 1, vcc
	v_lshl_or_b32 v5, v5, 9, v2
	v_cmp_eq_u32_e32 vcc, s15, v13
	v_cndmask_b32_e32 v5, v9, v5, vcc
	v_lshrrev_b32_e32 v6, 16, v6
	v_and_or_b32 v9, v6, s16, v5
	v_and_or_b32 v5, v12, s17, v11
	v_cmp_ne_u32_e32 vcc, 0, v5
	v_cndmask_b32_e64 v5, 0, 1, vcc
	v_lshrrev_b32_e32 v6, 8, v12
	v_and_or_b32 v11, v6, s14, v5
	v_bfe_u32 v6, v12, 20, 11
	v_sub_u32_e32 v13, 0x3f1, v6
	v_or_b32_e32 v5, 0x1000, v11
	v_med3_i32 v13, v13, 0, 13
	v_lshrrev_b32_e32 v14, v13, v5
	v_lshlrev_b32_e32 v13, v13, v14
	v_cmp_ne_u32_e32 vcc, v13, v5
	v_cndmask_b32_e64 v5, 0, 1, vcc
	v_add_u32_e32 v15, 0xfffffc10, v6
	v_or_b32_e32 v5, v14, v5
	v_lshl_or_b32 v6, v15, 12, v11
	v_cmp_gt_i32_e32 vcc, 1, v15
	v_cndmask_b32_e32 v5, v6, v5, vcc
	v_and_b32_e32 v6, 7, v5
	v_cmp_lt_i32_e32 vcc, 5, v6
	v_cmp_eq_u32_e64 s[2:3], 3, v6
	v_lshrrev_b32_e32 v13, 2, v5
	ds_read2_b32 v[5:6], v3 offset0:120 offset1:246
	s_or_b64 vcc, s[2:3], vcc
	v_addc_co_u32_e32 v3, vcc, 0, v13, vcc
	v_cmp_gt_i32_e32 vcc, 31, v15
	s_waitcnt lgkmcnt(0)
	v_lshrrev_b32_e32 v16, 16, v5
	v_mul_f16_sdwa v13, v75, v16 dst_sel:DWORD dst_unused:UNUSED_PAD src0_sel:WORD_1 src1_sel:DWORD
	v_fma_f16 v13, v75, v5, v13
	v_cvt_f32_f16_e32 v13, v13
	v_cndmask_b32_e32 v3, v2, v3, vcc
	v_cmp_ne_u32_e32 vcc, 0, v11
	v_cndmask_b32_e64 v11, 0, 1, vcc
	v_cvt_f64_f32_e32 v[13:14], v13
	v_lshl_or_b32 v11, v11, 9, v2
	v_cmp_eq_u32_e32 vcc, s15, v15
	v_cndmask_b32_e32 v3, v3, v11, vcc
	v_lshrrev_b32_e32 v11, 16, v12
	v_and_or_b32 v3, v11, s16, v3
	v_mul_f64 v[11:12], v[13:14], s[6:7]
	v_and_b32_e32 v9, 0xffff, v9
	v_add_co_u32_e32 v7, vcc, s10, v7
	v_lshl_or_b32 v3, v3, 16, v9
	v_addc_co_u32_e32 v8, vcc, v8, v1, vcc
	global_store_dword v[7:8], v3, off
	v_and_or_b32 v3, v12, s17, v11
	v_cmp_ne_u32_e32 vcc, 0, v3
	v_cndmask_b32_e64 v3, 0, 1, vcc
	v_lshrrev_b32_e32 v9, 8, v12
	v_bfe_u32 v11, v12, 20, 11
	v_and_or_b32 v3, v9, s14, v3
	v_sub_u32_e32 v13, 0x3f1, v11
	v_or_b32_e32 v9, 0x1000, v3
	v_med3_i32 v13, v13, 0, 13
	v_lshrrev_b32_e32 v14, v13, v9
	v_lshlrev_b32_e32 v13, v13, v14
	v_mul_f16_sdwa v5, v75, v5 dst_sel:DWORD dst_unused:UNUSED_PAD src0_sel:WORD_1 src1_sel:DWORD
	v_cmp_ne_u32_e32 vcc, v13, v9
	v_fma_f16 v5, v75, v16, -v5
	v_cndmask_b32_e64 v9, 0, 1, vcc
	v_add_u32_e32 v11, 0xfffffc10, v11
	v_cvt_f32_f16_e32 v5, v5
	v_or_b32_e32 v9, v14, v9
	v_lshl_or_b32 v13, v11, 12, v3
	v_cmp_gt_i32_e32 vcc, 1, v11
	v_cndmask_b32_e32 v9, v13, v9, vcc
	v_and_b32_e32 v13, 7, v9
	v_cmp_lt_i32_e32 vcc, 5, v13
	v_cmp_eq_u32_e64 s[2:3], 3, v13
	v_cvt_f64_f32_e32 v[13:14], v5
	v_lshrrev_b32_e32 v9, 2, v9
	s_or_b64 vcc, s[2:3], vcc
	v_addc_co_u32_e32 v5, vcc, 0, v9, vcc
	v_mul_f64 v[13:14], v[13:14], s[6:7]
	v_cmp_gt_i32_e32 vcc, 31, v11
	v_cndmask_b32_e32 v5, v2, v5, vcc
	v_cmp_ne_u32_e32 vcc, 0, v3
	v_cndmask_b32_e64 v3, 0, 1, vcc
	v_lshl_or_b32 v3, v3, 9, v2
	v_cmp_eq_u32_e32 vcc, s15, v11
	v_cndmask_b32_e32 v3, v5, v3, vcc
	v_lshrrev_b32_e32 v5, 16, v12
	v_and_or_b32 v3, v5, s16, v3
	v_and_or_b32 v5, v14, s17, v13
	v_cmp_ne_u32_e32 vcc, 0, v5
	v_cndmask_b32_e64 v5, 0, 1, vcc
	v_lshrrev_b32_e32 v9, 8, v14
	v_bfe_u32 v11, v14, 20, 11
	v_and_or_b32 v5, v9, s14, v5
	v_sub_u32_e32 v12, 0x3f1, v11
	v_or_b32_e32 v9, 0x1000, v5
	v_med3_i32 v12, v12, 0, 13
	v_lshrrev_b32_e32 v13, v12, v9
	v_lshlrev_b32_e32 v12, v12, v13
	v_cmp_ne_u32_e32 vcc, v12, v9
	v_cndmask_b32_e64 v9, 0, 1, vcc
	v_or_b32_e32 v9, v13, v9
	v_add_u32_e32 v13, 0xfffffc10, v11
	v_lshl_or_b32 v11, v13, 12, v5
	v_cmp_gt_i32_e32 vcc, 1, v13
	v_cndmask_b32_e32 v9, v11, v9, vcc
	v_and_b32_e32 v11, 7, v9
	v_lshrrev_b32_e32 v15, 16, v10
	v_cmp_lt_i32_e32 vcc, 5, v11
	v_cmp_eq_u32_e64 s[2:3], 3, v11
	v_mul_f16_sdwa v11, v74, v15 dst_sel:DWORD dst_unused:UNUSED_PAD src0_sel:WORD_1 src1_sel:DWORD
	v_fma_f16 v11, v74, v10, v11
	v_cvt_f32_f16_e32 v11, v11
	v_lshrrev_b32_e32 v9, 2, v9
	s_or_b64 vcc, s[2:3], vcc
	v_addc_co_u32_e32 v9, vcc, 0, v9, vcc
	v_cvt_f64_f32_e32 v[11:12], v11
	v_cmp_gt_i32_e32 vcc, 31, v13
	v_cndmask_b32_e32 v9, v2, v9, vcc
	v_cmp_ne_u32_e32 vcc, 0, v5
	v_mul_f64 v[11:12], v[11:12], s[6:7]
	v_cndmask_b32_e64 v5, 0, 1, vcc
	v_lshl_or_b32 v5, v5, 9, v2
	v_cmp_eq_u32_e32 vcc, s15, v13
	v_cndmask_b32_e32 v5, v9, v5, vcc
	v_lshrrev_b32_e32 v9, 16, v14
	v_and_or_b32 v5, v9, s16, v5
	v_and_b32_e32 v3, 0xffff, v3
	v_add_co_u32_e32 v7, vcc, s4, v7
	v_lshl_or_b32 v3, v5, 16, v3
	v_addc_co_u32_e32 v8, vcc, v8, v4, vcc
	global_store_dword v[7:8], v3, off
	v_and_or_b32 v3, v12, s17, v11
	v_cmp_ne_u32_e32 vcc, 0, v3
	v_cndmask_b32_e64 v3, 0, 1, vcc
	v_lshrrev_b32_e32 v5, 8, v12
	v_bfe_u32 v9, v12, 20, 11
	v_and_or_b32 v3, v5, s14, v3
	v_sub_u32_e32 v11, 0x3f1, v9
	v_or_b32_e32 v5, 0x1000, v3
	v_med3_i32 v11, v11, 0, 13
	v_lshrrev_b32_e32 v13, v11, v5
	v_lshlrev_b32_e32 v11, v11, v13
	v_mul_f16_sdwa v10, v74, v10 dst_sel:DWORD dst_unused:UNUSED_PAD src0_sel:WORD_1 src1_sel:DWORD
	v_cmp_ne_u32_e32 vcc, v11, v5
	v_fma_f16 v10, v74, v15, -v10
	v_cndmask_b32_e64 v5, 0, 1, vcc
	v_add_u32_e32 v11, 0xfffffc10, v9
	v_cvt_f32_f16_e32 v10, v10
	v_or_b32_e32 v5, v13, v5
	v_lshl_or_b32 v9, v11, 12, v3
	v_cmp_gt_i32_e32 vcc, 1, v11
	v_cndmask_b32_e32 v5, v9, v5, vcc
	v_and_b32_e32 v9, 7, v5
	v_cmp_lt_i32_e32 vcc, 5, v9
	v_cmp_eq_u32_e64 s[2:3], 3, v9
	v_cvt_f64_f32_e32 v[9:10], v10
	v_lshrrev_b32_e32 v5, 2, v5
	s_or_b64 vcc, s[2:3], vcc
	v_addc_co_u32_e32 v5, vcc, 0, v5, vcc
	v_mul_f64 v[9:10], v[9:10], s[6:7]
	v_cmp_gt_i32_e32 vcc, 31, v11
	v_cndmask_b32_e32 v5, v2, v5, vcc
	v_cmp_ne_u32_e32 vcc, 0, v3
	v_cndmask_b32_e64 v3, 0, 1, vcc
	v_lshl_or_b32 v3, v3, 9, v2
	v_cmp_eq_u32_e32 vcc, s15, v11
	v_cndmask_b32_e32 v3, v5, v3, vcc
	v_lshrrev_b32_e32 v5, 16, v12
	v_and_or_b32 v3, v5, s16, v3
	v_and_or_b32 v5, v10, s17, v9
	v_cmp_ne_u32_e32 vcc, 0, v5
	v_cndmask_b32_e64 v5, 0, 1, vcc
	v_lshrrev_b32_e32 v9, 8, v10
	v_bfe_u32 v11, v10, 20, 11
	v_and_or_b32 v5, v9, s14, v5
	v_sub_u32_e32 v12, 0x3f1, v11
	v_or_b32_e32 v9, 0x1000, v5
	v_med3_i32 v12, v12, 0, 13
	v_lshrrev_b32_e32 v13, v12, v9
	v_lshlrev_b32_e32 v12, v12, v13
	v_cmp_ne_u32_e32 vcc, v12, v9
	v_cndmask_b32_e64 v9, 0, 1, vcc
	v_or_b32_e32 v9, v13, v9
	v_add_u32_e32 v13, 0xfffffc10, v11
	v_lshl_or_b32 v11, v13, 12, v5
	v_cmp_gt_i32_e32 vcc, 1, v13
	v_cndmask_b32_e32 v9, v11, v9, vcc
	v_and_b32_e32 v11, 7, v9
	v_lshrrev_b32_e32 v14, 16, v6
	v_cmp_lt_i32_e32 vcc, 5, v11
	v_cmp_eq_u32_e64 s[2:3], 3, v11
	v_mul_f16_sdwa v11, v73, v14 dst_sel:DWORD dst_unused:UNUSED_PAD src0_sel:WORD_1 src1_sel:DWORD
	v_fma_f16 v11, v73, v6, v11
	v_cvt_f32_f16_e32 v11, v11
	v_lshrrev_b32_e32 v9, 2, v9
	s_or_b64 vcc, s[2:3], vcc
	v_addc_co_u32_e32 v9, vcc, 0, v9, vcc
	v_cmp_gt_i32_e32 vcc, 31, v13
	v_cndmask_b32_e32 v9, v2, v9, vcc
	v_cmp_ne_u32_e32 vcc, 0, v5
	v_cvt_f64_f32_e32 v[11:12], v11
	v_cndmask_b32_e64 v5, 0, 1, vcc
	v_lshl_or_b32 v5, v5, 9, v2
	v_cmp_eq_u32_e32 vcc, s15, v13
	v_cndmask_b32_e32 v5, v9, v5, vcc
	v_lshrrev_b32_e32 v9, 16, v10
	v_and_or_b32 v5, v9, s16, v5
	v_mul_f64 v[9:10], v[11:12], s[6:7]
	v_and_b32_e32 v3, 0xffff, v3
	v_add_co_u32_e32 v7, vcc, s10, v7
	v_lshl_or_b32 v3, v5, 16, v3
	v_addc_co_u32_e32 v8, vcc, v8, v1, vcc
	global_store_dword v[7:8], v3, off
	v_and_or_b32 v3, v10, s17, v9
	v_cmp_ne_u32_e32 vcc, 0, v3
	v_cndmask_b32_e64 v3, 0, 1, vcc
	v_lshrrev_b32_e32 v5, 8, v10
	v_bfe_u32 v9, v10, 20, 11
	v_and_or_b32 v3, v5, s14, v3
	v_sub_u32_e32 v11, 0x3f1, v9
	v_or_b32_e32 v5, 0x1000, v3
	v_med3_i32 v11, v11, 0, 13
	v_lshrrev_b32_e32 v12, v11, v5
	v_lshlrev_b32_e32 v11, v11, v12
	v_mul_f16_sdwa v6, v73, v6 dst_sel:DWORD dst_unused:UNUSED_PAD src0_sel:WORD_1 src1_sel:DWORD
	v_cmp_ne_u32_e32 vcc, v11, v5
	v_fma_f16 v6, v73, v14, -v6
	v_cndmask_b32_e64 v5, 0, 1, vcc
	v_add_u32_e32 v9, 0xfffffc10, v9
	v_cvt_f32_f16_e32 v6, v6
	v_or_b32_e32 v5, v12, v5
	v_lshl_or_b32 v11, v9, 12, v3
	v_cmp_gt_i32_e32 vcc, 1, v9
	v_cndmask_b32_e32 v5, v11, v5, vcc
	v_and_b32_e32 v11, 7, v5
	v_cmp_lt_i32_e32 vcc, 5, v11
	v_cmp_eq_u32_e64 s[2:3], 3, v11
	v_lshrrev_b32_e32 v11, 2, v5
	v_cvt_f64_f32_e32 v[5:6], v6
	s_or_b64 vcc, s[2:3], vcc
	v_addc_co_u32_e32 v11, vcc, 0, v11, vcc
	v_mul_f64 v[5:6], v[5:6], s[6:7]
	v_cmp_gt_i32_e32 vcc, 31, v9
	v_cndmask_b32_e32 v11, v2, v11, vcc
	v_cmp_ne_u32_e32 vcc, 0, v3
	v_cndmask_b32_e64 v3, 0, 1, vcc
	v_lshl_or_b32 v3, v3, 9, v2
	v_cmp_eq_u32_e32 vcc, s15, v9
	v_cndmask_b32_e32 v3, v11, v3, vcc
	v_and_or_b32 v5, v6, s17, v5
	v_lshrrev_b32_e32 v9, 16, v10
	v_cmp_ne_u32_e32 vcc, 0, v5
	v_and_or_b32 v3, v9, s16, v3
	v_cndmask_b32_e64 v5, 0, 1, vcc
	v_lshrrev_b32_e32 v9, 8, v6
	v_bfe_u32 v10, v6, 20, 11
	v_and_or_b32 v5, v9, s14, v5
	v_sub_u32_e32 v11, 0x3f1, v10
	v_or_b32_e32 v9, 0x1000, v5
	v_med3_i32 v11, v11, 0, 13
	v_lshrrev_b32_e32 v12, v11, v9
	v_lshlrev_b32_e32 v11, v11, v12
	v_cmp_ne_u32_e32 vcc, v11, v9
	v_cndmask_b32_e64 v9, 0, 1, vcc
	v_add_u32_e32 v13, 0xfffffc10, v10
	v_or_b32_e32 v9, v12, v9
	v_lshl_or_b32 v10, v13, 12, v5
	v_cmp_gt_i32_e32 vcc, 1, v13
	v_cndmask_b32_e32 v9, v10, v9, vcc
	v_and_b32_e32 v10, 7, v9
	v_lshrrev_b32_e32 v11, 2, v9
	v_add_u32_e32 v9, 0x1800, v69
	v_cmp_lt_i32_e32 vcc, 5, v10
	v_cmp_eq_u32_e64 s[2:3], 3, v10
	ds_read2_b32 v[9:10], v9 offset0:39 offset1:165
	s_or_b64 vcc, s[2:3], vcc
	v_addc_co_u32_e32 v11, vcc, 0, v11, vcc
	v_cmp_gt_i32_e32 vcc, 31, v13
	s_waitcnt lgkmcnt(0)
	v_lshrrev_b32_e32 v15, 16, v9
	v_cndmask_b32_e32 v14, v2, v11, vcc
	v_mul_f16_sdwa v11, v72, v15 dst_sel:DWORD dst_unused:UNUSED_PAD src0_sel:WORD_1 src1_sel:DWORD
	v_fma_f16 v11, v72, v9, v11
	v_cvt_f32_f16_e32 v11, v11
	v_cmp_ne_u32_e32 vcc, 0, v5
	v_cndmask_b32_e64 v5, 0, 1, vcc
	v_lshl_or_b32 v5, v5, 9, v2
	v_cvt_f64_f32_e32 v[11:12], v11
	v_cmp_eq_u32_e32 vcc, s15, v13
	v_cndmask_b32_e32 v5, v14, v5, vcc
	v_lshrrev_b32_e32 v6, 16, v6
	v_and_or_b32 v13, v6, s16, v5
	v_mul_f64 v[5:6], v[11:12], s[6:7]
	v_and_b32_e32 v3, 0xffff, v3
	v_add_co_u32_e32 v7, vcc, s4, v7
	v_lshl_or_b32 v3, v13, 16, v3
	v_addc_co_u32_e32 v8, vcc, v8, v4, vcc
	global_store_dword v[7:8], v3, off
	v_and_or_b32 v3, v6, s17, v5
	v_cmp_ne_u32_e32 vcc, 0, v3
	v_cndmask_b32_e64 v3, 0, 1, vcc
	v_lshrrev_b32_e32 v5, 8, v6
	v_bfe_u32 v11, v6, 20, 11
	v_and_or_b32 v3, v5, s14, v3
	v_sub_u32_e32 v12, 0x3f1, v11
	v_or_b32_e32 v5, 0x1000, v3
	v_med3_i32 v12, v12, 0, 13
	v_lshrrev_b32_e32 v13, v12, v5
	v_lshlrev_b32_e32 v12, v12, v13
	v_cmp_ne_u32_e32 vcc, v12, v5
	v_mul_f16_sdwa v9, v72, v9 dst_sel:DWORD dst_unused:UNUSED_PAD src0_sel:WORD_1 src1_sel:DWORD
	v_cndmask_b32_e64 v5, 0, 1, vcc
	v_fma_f16 v9, v72, v15, -v9
	v_or_b32_e32 v5, v13, v5
	v_add_u32_e32 v13, 0xfffffc10, v11
	v_cvt_f32_f16_e32 v9, v9
	v_lshl_or_b32 v11, v13, 12, v3
	v_cmp_gt_i32_e32 vcc, 1, v13
	v_cndmask_b32_e32 v5, v11, v5, vcc
	v_and_b32_e32 v11, 7, v5
	v_cmp_lt_i32_e32 vcc, 5, v11
	v_cmp_eq_u32_e64 s[2:3], 3, v11
	v_cvt_f64_f32_e32 v[11:12], v9
	v_lshrrev_b32_e32 v5, 2, v5
	s_or_b64 vcc, s[2:3], vcc
	v_addc_co_u32_e32 v5, vcc, 0, v5, vcc
	v_mul_f64 v[11:12], v[11:12], s[6:7]
	v_cmp_gt_i32_e32 vcc, 31, v13
	v_cndmask_b32_e32 v5, v2, v5, vcc
	v_cmp_ne_u32_e32 vcc, 0, v3
	v_cndmask_b32_e64 v3, 0, 1, vcc
	v_lshl_or_b32 v3, v3, 9, v2
	v_cmp_eq_u32_e32 vcc, s15, v13
	v_cndmask_b32_e32 v3, v5, v3, vcc
	v_lshrrev_b32_e32 v5, 16, v6
	v_and_or_b32 v3, v5, s16, v3
	v_and_or_b32 v5, v12, s17, v11
	v_cmp_ne_u32_e32 vcc, 0, v5
	v_cndmask_b32_e64 v5, 0, 1, vcc
	v_lshrrev_b32_e32 v6, 8, v12
	v_bfe_u32 v9, v12, 20, 11
	v_and_or_b32 v5, v6, s14, v5
	v_sub_u32_e32 v11, 0x3f1, v9
	v_or_b32_e32 v6, 0x1000, v5
	v_med3_i32 v11, v11, 0, 13
	v_lshrrev_b32_e32 v13, v11, v6
	v_lshlrev_b32_e32 v11, v11, v13
	v_cmp_ne_u32_e32 vcc, v11, v6
	v_cndmask_b32_e64 v6, 0, 1, vcc
	v_add_u32_e32 v9, 0xfffffc10, v9
	v_or_b32_e32 v6, v13, v6
	v_lshl_or_b32 v11, v9, 12, v5
	v_cmp_gt_i32_e32 vcc, 1, v9
	v_cndmask_b32_e32 v6, v11, v6, vcc
	v_and_b32_e32 v11, 7, v6
	v_cmp_lt_i32_e32 vcc, 5, v11
	v_cmp_eq_u32_e64 s[2:3], 3, v11
	v_lshrrev_b32_e32 v6, 2, v6
	s_or_b64 vcc, s[2:3], vcc
	v_addc_co_u32_e32 v6, vcc, 0, v6, vcc
	v_cmp_gt_i32_e32 vcc, 31, v9
	v_lshrrev_b32_e32 v13, 16, v0
	v_cndmask_b32_e32 v11, v2, v6, vcc
	v_mul_f16_sdwa v6, v71, v13 dst_sel:DWORD dst_unused:UNUSED_PAD src0_sel:WORD_1 src1_sel:DWORD
	v_fma_f16 v6, v71, v0, v6
	v_cvt_f32_f16_e32 v6, v6
	v_cmp_ne_u32_e32 vcc, 0, v5
	v_cndmask_b32_e64 v5, 0, 1, vcc
	v_lshl_or_b32 v14, v5, 9, v2
	v_cvt_f64_f32_e32 v[5:6], v6
	v_cmp_eq_u32_e32 vcc, s15, v9
	v_cndmask_b32_e32 v9, v11, v14, vcc
	v_lshrrev_b32_e32 v11, 16, v12
	v_mul_f64 v[5:6], v[5:6], s[6:7]
	v_and_or_b32 v9, v11, s16, v9
	v_and_b32_e32 v3, 0xffff, v3
	v_add_co_u32_e32 v7, vcc, s10, v7
	v_lshl_or_b32 v3, v9, 16, v3
	v_addc_co_u32_e32 v8, vcc, v8, v1, vcc
	global_store_dword v[7:8], v3, off
	v_and_or_b32 v3, v6, s17, v5
	v_cmp_ne_u32_e32 vcc, 0, v3
	v_cndmask_b32_e64 v3, 0, 1, vcc
	v_lshrrev_b32_e32 v5, 8, v6
	v_bfe_u32 v9, v6, 20, 11
	v_and_or_b32 v3, v5, s14, v3
	v_sub_u32_e32 v11, 0x3f1, v9
	v_or_b32_e32 v5, 0x1000, v3
	v_med3_i32 v11, v11, 0, 13
	v_lshrrev_b32_e32 v12, v11, v5
	v_lshlrev_b32_e32 v11, v11, v12
	v_mul_f16_sdwa v0, v71, v0 dst_sel:DWORD dst_unused:UNUSED_PAD src0_sel:WORD_1 src1_sel:DWORD
	v_cmp_ne_u32_e32 vcc, v11, v5
	v_fma_f16 v0, v71, v13, -v0
	v_cndmask_b32_e64 v5, 0, 1, vcc
	v_add_u32_e32 v9, 0xfffffc10, v9
	v_cvt_f32_f16_e32 v0, v0
	v_or_b32_e32 v5, v12, v5
	v_lshl_or_b32 v11, v9, 12, v3
	v_cmp_gt_i32_e32 vcc, 1, v9
	v_cndmask_b32_e32 v5, v11, v5, vcc
	v_and_b32_e32 v11, 7, v5
	v_cmp_lt_i32_e32 vcc, 5, v11
	v_cmp_eq_u32_e64 s[2:3], 3, v11
	v_cvt_f64_f32_e32 v[11:12], v0
	v_lshrrev_b32_e32 v5, 2, v5
	s_or_b64 vcc, s[2:3], vcc
	v_addc_co_u32_e32 v0, vcc, 0, v5, vcc
	v_mul_f64 v[11:12], v[11:12], s[6:7]
	v_cmp_gt_i32_e32 vcc, 31, v9
	v_cndmask_b32_e32 v0, v2, v0, vcc
	v_cmp_ne_u32_e32 vcc, 0, v3
	v_cndmask_b32_e64 v3, 0, 1, vcc
	v_lshl_or_b32 v3, v3, 9, v2
	v_cmp_eq_u32_e32 vcc, s15, v9
	v_cndmask_b32_e32 v0, v0, v3, vcc
	v_lshrrev_b32_e32 v3, 16, v6
	v_and_or_b32 v0, v3, s16, v0
	v_and_or_b32 v3, v12, s17, v11
	v_cmp_ne_u32_e32 vcc, 0, v3
	v_cndmask_b32_e64 v3, 0, 1, vcc
	v_lshrrev_b32_e32 v5, 8, v12
	v_bfe_u32 v6, v12, 20, 11
	v_and_or_b32 v3, v5, s14, v3
	v_sub_u32_e32 v9, 0x3f1, v6
	v_or_b32_e32 v5, 0x1000, v3
	v_med3_i32 v9, v9, 0, 13
	v_lshrrev_b32_e32 v11, v9, v5
	v_lshlrev_b32_e32 v9, v9, v11
	v_cmp_ne_u32_e32 vcc, v9, v5
	v_cndmask_b32_e64 v5, 0, 1, vcc
	v_add_u32_e32 v9, 0xfffffc10, v6
	v_or_b32_e32 v5, v11, v5
	v_lshl_or_b32 v6, v9, 12, v3
	v_cmp_gt_i32_e32 vcc, 1, v9
	v_cndmask_b32_e32 v5, v6, v5, vcc
	v_and_b32_e32 v6, 7, v5
	v_cmp_lt_i32_e32 vcc, 5, v6
	v_cmp_eq_u32_e64 s[2:3], 3, v6
	v_lshrrev_b32_e32 v5, 2, v5
	s_or_b64 vcc, s[2:3], vcc
	v_addc_co_u32_e32 v5, vcc, 0, v5, vcc
	v_cmp_gt_i32_e32 vcc, 31, v9
	v_lshrrev_b32_e32 v13, 16, v10
	v_cndmask_b32_e32 v11, v2, v5, vcc
	v_mul_f16_sdwa v5, v70, v13 dst_sel:DWORD dst_unused:UNUSED_PAD src0_sel:WORD_1 src1_sel:DWORD
	v_fma_f16 v5, v70, v10, v5
	v_cvt_f32_f16_e32 v5, v5
	v_cmp_ne_u32_e32 vcc, 0, v3
	v_cndmask_b32_e64 v3, 0, 1, vcc
	v_lshl_or_b32 v3, v3, 9, v2
	v_cvt_f64_f32_e32 v[5:6], v5
	v_cmp_eq_u32_e32 vcc, s15, v9
	v_cndmask_b32_e32 v3, v11, v3, vcc
	v_lshrrev_b32_e32 v9, 16, v12
	v_mul_f64 v[5:6], v[5:6], s[6:7]
	v_and_or_b32 v3, v9, s16, v3
	v_and_b32_e32 v0, 0xffff, v0
	v_lshl_or_b32 v0, v3, 16, v0
	v_add_co_u32_e32 v3, vcc, s4, v7
	v_addc_co_u32_e32 v4, vcc, v8, v4, vcc
	global_store_dword v[3:4], v0, off
	v_and_or_b32 v0, v6, s17, v5
	v_cmp_ne_u32_e32 vcc, 0, v0
	v_cndmask_b32_e64 v0, 0, 1, vcc
	v_lshrrev_b32_e32 v5, 8, v6
	v_bfe_u32 v7, v6, 20, 11
	v_and_or_b32 v0, v5, s14, v0
	v_sub_u32_e32 v8, 0x3f1, v7
	v_or_b32_e32 v5, 0x1000, v0
	v_med3_i32 v8, v8, 0, 13
	v_lshrrev_b32_e32 v9, v8, v5
	v_lshlrev_b32_e32 v8, v8, v9
	v_cmp_ne_u32_e32 vcc, v8, v5
	v_mul_f16_sdwa v8, v70, v10 dst_sel:DWORD dst_unused:UNUSED_PAD src0_sel:WORD_1 src1_sel:DWORD
	v_cndmask_b32_e64 v5, 0, 1, vcc
	v_fma_f16 v8, v70, v13, -v8
	v_or_b32_e32 v5, v9, v5
	v_add_u32_e32 v9, 0xfffffc10, v7
	v_cvt_f32_f16_e32 v8, v8
	v_lshl_or_b32 v7, v9, 12, v0
	v_cmp_gt_i32_e32 vcc, 1, v9
	v_cndmask_b32_e32 v5, v7, v5, vcc
	v_and_b32_e32 v7, 7, v5
	v_cmp_lt_i32_e32 vcc, 5, v7
	v_cmp_eq_u32_e64 s[2:3], 3, v7
	v_cvt_f64_f32_e32 v[7:8], v8
	v_lshrrev_b32_e32 v5, 2, v5
	s_or_b64 vcc, s[2:3], vcc
	v_addc_co_u32_e32 v5, vcc, 0, v5, vcc
	v_mul_f64 v[7:8], v[7:8], s[6:7]
	v_cmp_gt_i32_e32 vcc, 31, v9
	v_cndmask_b32_e32 v5, v2, v5, vcc
	v_cmp_ne_u32_e32 vcc, 0, v0
	v_cndmask_b32_e64 v0, 0, 1, vcc
	v_lshl_or_b32 v0, v0, 9, v2
	v_cmp_eq_u32_e32 vcc, s15, v9
	v_cndmask_b32_e32 v0, v5, v0, vcc
	v_lshrrev_b32_e32 v5, 16, v6
	v_and_or_b32 v0, v5, s16, v0
	v_and_or_b32 v5, v8, s17, v7
	v_cmp_ne_u32_e32 vcc, 0, v5
	v_cndmask_b32_e64 v5, 0, 1, vcc
	v_lshrrev_b32_e32 v6, 8, v8
	v_bfe_u32 v7, v8, 20, 11
	v_and_or_b32 v5, v6, s14, v5
	v_sub_u32_e32 v9, 0x3f1, v7
	v_or_b32_e32 v6, 0x1000, v5
	v_med3_i32 v9, v9, 0, 13
	v_lshrrev_b32_e32 v10, v9, v6
	v_lshlrev_b32_e32 v9, v9, v10
	v_cmp_ne_u32_e32 vcc, v9, v6
	v_cndmask_b32_e64 v6, 0, 1, vcc
	v_add_u32_e32 v7, 0xfffffc10, v7
	v_or_b32_e32 v6, v10, v6
	v_lshl_or_b32 v9, v7, 12, v5
	v_cmp_gt_i32_e32 vcc, 1, v7
	v_cndmask_b32_e32 v6, v9, v6, vcc
	v_and_b32_e32 v9, 7, v6
	v_cmp_lt_i32_e32 vcc, 5, v9
	v_cmp_eq_u32_e64 s[2:3], 3, v9
	v_lshrrev_b32_e32 v6, 2, v6
	s_or_b64 vcc, s[2:3], vcc
	v_addc_co_u32_e32 v6, vcc, 0, v6, vcc
	v_cmp_gt_i32_e32 vcc, 31, v7
	v_cndmask_b32_e32 v6, v2, v6, vcc
	v_cmp_ne_u32_e32 vcc, 0, v5
	v_cndmask_b32_e64 v5, 0, 1, vcc
	v_lshl_or_b32 v5, v5, 9, v2
	v_cmp_eq_u32_e32 vcc, s15, v7
	v_cndmask_b32_e32 v5, v6, v5, vcc
	v_lshrrev_b32_e32 v6, 16, v8
	v_and_or_b32 v5, v6, s16, v5
	v_and_b32_e32 v0, 0xffff, v0
	v_lshl_or_b32 v5, v5, 16, v0
	v_add_co_u32_e32 v0, vcc, s10, v3
	v_addc_co_u32_e32 v1, vcc, v4, v1, vcc
	global_store_dword v[0:1], v5, off
	s_and_b64 exec, exec, s[0:1]
	s_cbranch_execz .LBB0_23
; %bb.22:
	global_load_dword v3, v[24:25], off offset:3528
	ds_read_b32 v4, v69 offset:3528
	ds_read_b32 v9, v69 offset:7308
	v_add_co_u32_e32 v7, vcc, s18, v24
	v_addc_co_u32_e32 v8, vcc, 0, v25, vcc
	s_waitcnt lgkmcnt(1)
	v_lshrrev_b32_e32 v5, 16, v4
	v_mov_b32_e32 v10, s5
	v_add_co_u32_e32 v0, vcc, s4, v0
	v_addc_co_u32_e32 v1, vcc, v1, v10, vcc
	s_waitcnt vmcnt(0)
	v_mul_f16_sdwa v6, v5, v3 dst_sel:DWORD dst_unused:UNUSED_PAD src0_sel:DWORD src1_sel:WORD_1
	v_fma_f16 v6, v4, v3, v6
	v_mul_f16_sdwa v4, v4, v3 dst_sel:DWORD dst_unused:UNUSED_PAD src0_sel:DWORD src1_sel:WORD_1
	v_cvt_f32_f16_e32 v6, v6
	v_fma_f16 v3, v3, v5, -v4
	v_cvt_f32_f16_e32 v5, v3
	v_cvt_f64_f32_e32 v[3:4], v6
	v_cvt_f64_f32_e32 v[5:6], v5
	v_mul_f64 v[3:4], v[3:4], s[6:7]
	v_mul_f64 v[5:6], v[5:6], s[6:7]
	v_and_or_b32 v3, v4, s17, v3
	v_cmp_ne_u32_e32 vcc, 0, v3
	v_and_or_b32 v5, v6, s17, v5
	v_lshrrev_b32_e32 v10, 8, v4
	v_bfe_u32 v11, v4, 20, 11
	v_cndmask_b32_e64 v3, 0, 1, vcc
	v_cmp_ne_u32_e32 vcc, 0, v5
	v_lshrrev_b32_e32 v12, 8, v6
	v_bfe_u32 v13, v6, 20, 11
	v_sub_u32_e32 v14, 0x3f1, v11
	v_cndmask_b32_e64 v5, 0, 1, vcc
	v_and_or_b32 v3, v10, s14, v3
	v_sub_u32_e32 v15, 0x3f1, v13
	v_med3_i32 v10, v14, 0, 13
	v_and_or_b32 v5, v12, s14, v5
	v_or_b32_e32 v14, 0x1000, v3
	v_add_u32_e32 v11, 0xfffffc10, v11
	v_med3_i32 v12, v15, 0, 13
	v_cmp_ne_u32_e32 vcc, 0, v3
	v_or_b32_e32 v16, 0x1000, v5
	v_lshrrev_b32_e32 v18, v10, v14
	v_add_u32_e32 v13, 0xfffffc10, v13
	v_lshl_or_b32 v15, v11, 12, v3
	v_cndmask_b32_e64 v3, 0, 1, vcc
	v_cmp_ne_u32_e32 vcc, 0, v5
	v_lshrrev_b32_e32 v19, v12, v16
	v_lshlrev_b32_e32 v10, v10, v18
	v_lshl_or_b32 v17, v13, 12, v5
	v_cndmask_b32_e64 v5, 0, 1, vcc
	v_lshlrev_b32_e32 v12, v12, v19
	v_cmp_ne_u32_e32 vcc, v10, v14
	v_cndmask_b32_e64 v10, 0, 1, vcc
	v_cmp_ne_u32_e32 vcc, v12, v16
	v_cndmask_b32_e64 v12, 0, 1, vcc
	v_or_b32_e32 v10, v18, v10
	v_cmp_gt_i32_e32 vcc, 1, v11
	v_cndmask_b32_e32 v10, v15, v10, vcc
	v_or_b32_e32 v12, v19, v12
	v_cmp_gt_i32_e32 vcc, 1, v13
	v_and_b32_e32 v14, 7, v10
	v_cndmask_b32_e32 v12, v17, v12, vcc
	v_cmp_lt_i32_e32 vcc, 5, v14
	v_cmp_eq_u32_e64 s[0:1], 3, v14
	v_lshrrev_b32_e32 v10, 2, v10
	v_and_b32_e32 v15, 7, v12
	s_or_b64 vcc, s[0:1], vcc
	v_cmp_lt_i32_e64 s[2:3], 5, v15
	v_cmp_eq_u32_e64 s[4:5], 3, v15
	v_addc_co_u32_e32 v10, vcc, 0, v10, vcc
	v_lshrrev_b32_e32 v12, 2, v12
	s_or_b64 vcc, s[4:5], s[2:3]
	v_addc_co_u32_e32 v12, vcc, 0, v12, vcc
	v_cmp_gt_i32_e32 vcc, 31, v11
	v_cndmask_b32_e32 v10, v2, v10, vcc
	v_cmp_gt_i32_e32 vcc, 31, v13
	v_lshl_or_b32 v3, v3, 9, v2
	v_cndmask_b32_e32 v12, v2, v12, vcc
	v_cmp_eq_u32_e32 vcc, s15, v11
	v_lshrrev_b32_e32 v4, 16, v4
	v_lshl_or_b32 v5, v5, 9, v2
	v_cndmask_b32_e32 v3, v10, v3, vcc
	v_cmp_eq_u32_e32 vcc, s15, v13
	v_lshrrev_b32_e32 v6, 16, v6
	v_cndmask_b32_e32 v5, v12, v5, vcc
	v_and_or_b32 v3, v4, s16, v3
	v_and_or_b32 v4, v6, s16, v5
	v_and_b32_e32 v3, 0xffff, v3
	v_lshl_or_b32 v3, v4, 16, v3
	global_store_dword v[0:1], v3, off
	global_load_dword v3, v[7:8], off offset:3212
	s_waitcnt lgkmcnt(0)
	v_lshrrev_b32_e32 v4, 16, v9
	v_mov_b32_e32 v7, s11
	s_waitcnt vmcnt(0)
	v_mul_f16_sdwa v5, v4, v3 dst_sel:DWORD dst_unused:UNUSED_PAD src0_sel:DWORD src1_sel:WORD_1
	v_fma_f16 v5, v9, v3, v5
	v_mul_f16_sdwa v6, v9, v3 dst_sel:DWORD dst_unused:UNUSED_PAD src0_sel:DWORD src1_sel:WORD_1
	v_cvt_f32_f16_e32 v5, v5
	v_fma_f16 v3, v3, v4, -v6
	v_cvt_f32_f16_e32 v6, v3
	v_cvt_f64_f32_e32 v[3:4], v5
	v_cvt_f64_f32_e32 v[5:6], v6
	v_mul_f64 v[3:4], v[3:4], s[6:7]
	v_mul_f64 v[5:6], v[5:6], s[6:7]
	v_and_or_b32 v3, v4, s17, v3
	v_cmp_ne_u32_e32 vcc, 0, v3
	v_and_or_b32 v5, v6, s17, v5
	v_lshrrev_b32_e32 v8, 8, v4
	v_bfe_u32 v9, v4, 20, 11
	v_cndmask_b32_e64 v3, 0, 1, vcc
	v_cmp_ne_u32_e32 vcc, 0, v5
	v_lshrrev_b32_e32 v10, 8, v6
	v_bfe_u32 v11, v6, 20, 11
	v_sub_u32_e32 v12, 0x3f1, v9
	v_cndmask_b32_e64 v5, 0, 1, vcc
	v_and_or_b32 v3, v8, s14, v3
	v_sub_u32_e32 v13, 0x3f1, v11
	v_med3_i32 v8, v12, 0, 13
	v_and_or_b32 v5, v10, s14, v5
	v_or_b32_e32 v12, 0x1000, v3
	v_add_u32_e32 v9, 0xfffffc10, v9
	v_med3_i32 v10, v13, 0, 13
	v_cmp_ne_u32_e32 vcc, 0, v3
	v_or_b32_e32 v14, 0x1000, v5
	v_lshrrev_b32_e32 v16, v8, v12
	v_add_u32_e32 v11, 0xfffffc10, v11
	v_lshl_or_b32 v13, v9, 12, v3
	v_cndmask_b32_e64 v3, 0, 1, vcc
	v_cmp_ne_u32_e32 vcc, 0, v5
	v_lshrrev_b32_e32 v17, v10, v14
	v_lshlrev_b32_e32 v8, v8, v16
	v_lshl_or_b32 v15, v11, 12, v5
	v_cndmask_b32_e64 v5, 0, 1, vcc
	v_lshlrev_b32_e32 v10, v10, v17
	v_cmp_ne_u32_e32 vcc, v8, v12
	v_cndmask_b32_e64 v8, 0, 1, vcc
	v_cmp_ne_u32_e32 vcc, v10, v14
	v_cndmask_b32_e64 v10, 0, 1, vcc
	v_or_b32_e32 v8, v16, v8
	v_cmp_gt_i32_e32 vcc, 1, v9
	v_cndmask_b32_e32 v8, v13, v8, vcc
	v_or_b32_e32 v10, v17, v10
	v_cmp_gt_i32_e32 vcc, 1, v11
	v_and_b32_e32 v12, 7, v8
	v_cndmask_b32_e32 v10, v15, v10, vcc
	v_cmp_lt_i32_e32 vcc, 5, v12
	v_cmp_eq_u32_e64 s[0:1], 3, v12
	v_lshrrev_b32_e32 v8, 2, v8
	v_and_b32_e32 v13, 7, v10
	s_or_b64 vcc, s[0:1], vcc
	v_cmp_lt_i32_e64 s[2:3], 5, v13
	v_cmp_eq_u32_e64 s[4:5], 3, v13
	v_addc_co_u32_e32 v8, vcc, 0, v8, vcc
	v_lshrrev_b32_e32 v10, 2, v10
	s_or_b64 vcc, s[4:5], s[2:3]
	v_addc_co_u32_e32 v10, vcc, 0, v10, vcc
	v_cmp_gt_i32_e32 vcc, 31, v9
	v_cndmask_b32_e32 v8, v2, v8, vcc
	v_cmp_gt_i32_e32 vcc, 31, v11
	v_lshl_or_b32 v3, v3, 9, v2
	v_lshl_or_b32 v5, v5, 9, v2
	v_cndmask_b32_e32 v2, v2, v10, vcc
	v_cmp_eq_u32_e32 vcc, s15, v9
	v_lshrrev_b32_e32 v4, 16, v4
	v_cndmask_b32_e32 v3, v8, v3, vcc
	v_cmp_eq_u32_e32 vcc, s15, v11
	v_lshrrev_b32_e32 v6, 16, v6
	v_cndmask_b32_e32 v2, v2, v5, vcc
	v_and_or_b32 v3, v4, s16, v3
	v_and_or_b32 v2, v6, s16, v2
	v_and_b32_e32 v3, 0xffff, v3
	v_add_co_u32_e32 v0, vcc, s10, v0
	v_lshl_or_b32 v2, v2, 16, v3
	v_addc_co_u32_e32 v1, vcc, v1, v7, vcc
	global_store_dword v[0:1], v2, off
.LBB0_23:
	s_endpgm
	.section	.rodata,"a",@progbits
	.p2align	6, 0x0
	.amdhsa_kernel bluestein_single_fwd_len1890_dim1_half_op_CI_CI
		.amdhsa_group_segment_fixed_size 7560
		.amdhsa_private_segment_fixed_size 0
		.amdhsa_kernarg_size 104
		.amdhsa_user_sgpr_count 6
		.amdhsa_user_sgpr_private_segment_buffer 1
		.amdhsa_user_sgpr_dispatch_ptr 0
		.amdhsa_user_sgpr_queue_ptr 0
		.amdhsa_user_sgpr_kernarg_segment_ptr 1
		.amdhsa_user_sgpr_dispatch_id 0
		.amdhsa_user_sgpr_flat_scratch_init 0
		.amdhsa_user_sgpr_private_segment_size 0
		.amdhsa_uses_dynamic_stack 0
		.amdhsa_system_sgpr_private_segment_wavefront_offset 0
		.amdhsa_system_sgpr_workgroup_id_x 1
		.amdhsa_system_sgpr_workgroup_id_y 0
		.amdhsa_system_sgpr_workgroup_id_z 0
		.amdhsa_system_sgpr_workgroup_info 0
		.amdhsa_system_vgpr_workitem_id 0
		.amdhsa_next_free_vgpr 165
		.amdhsa_next_free_sgpr 23
		.amdhsa_reserve_vcc 1
		.amdhsa_reserve_flat_scratch 0
		.amdhsa_float_round_mode_32 0
		.amdhsa_float_round_mode_16_64 0
		.amdhsa_float_denorm_mode_32 3
		.amdhsa_float_denorm_mode_16_64 3
		.amdhsa_dx10_clamp 1
		.amdhsa_ieee_mode 1
		.amdhsa_fp16_overflow 0
		.amdhsa_exception_fp_ieee_invalid_op 0
		.amdhsa_exception_fp_denorm_src 0
		.amdhsa_exception_fp_ieee_div_zero 0
		.amdhsa_exception_fp_ieee_overflow 0
		.amdhsa_exception_fp_ieee_underflow 0
		.amdhsa_exception_fp_ieee_inexact 0
		.amdhsa_exception_int_div_zero 0
	.end_amdhsa_kernel
	.text
.Lfunc_end0:
	.size	bluestein_single_fwd_len1890_dim1_half_op_CI_CI, .Lfunc_end0-bluestein_single_fwd_len1890_dim1_half_op_CI_CI
                                        ; -- End function
	.section	.AMDGPU.csdata,"",@progbits
; Kernel info:
; codeLenInByte = 27932
; NumSgprs: 27
; NumVgprs: 165
; ScratchSize: 0
; MemoryBound: 0
; FloatMode: 240
; IeeeMode: 1
; LDSByteSize: 7560 bytes/workgroup (compile time only)
; SGPRBlocks: 3
; VGPRBlocks: 41
; NumSGPRsForWavesPerEU: 27
; NumVGPRsForWavesPerEU: 165
; Occupancy: 1
; WaveLimiterHint : 1
; COMPUTE_PGM_RSRC2:SCRATCH_EN: 0
; COMPUTE_PGM_RSRC2:USER_SGPR: 6
; COMPUTE_PGM_RSRC2:TRAP_HANDLER: 0
; COMPUTE_PGM_RSRC2:TGID_X_EN: 1
; COMPUTE_PGM_RSRC2:TGID_Y_EN: 0
; COMPUTE_PGM_RSRC2:TGID_Z_EN: 0
; COMPUTE_PGM_RSRC2:TIDIG_COMP_CNT: 0
	.type	__hip_cuid_ccfc5fef079c2901,@object ; @__hip_cuid_ccfc5fef079c2901
	.section	.bss,"aw",@nobits
	.globl	__hip_cuid_ccfc5fef079c2901
__hip_cuid_ccfc5fef079c2901:
	.byte	0                               ; 0x0
	.size	__hip_cuid_ccfc5fef079c2901, 1

	.ident	"AMD clang version 19.0.0git (https://github.com/RadeonOpenCompute/llvm-project roc-6.4.0 25133 c7fe45cf4b819c5991fe208aaa96edf142730f1d)"
	.section	".note.GNU-stack","",@progbits
	.addrsig
	.addrsig_sym __hip_cuid_ccfc5fef079c2901
	.amdgpu_metadata
---
amdhsa.kernels:
  - .args:
      - .actual_access:  read_only
        .address_space:  global
        .offset:         0
        .size:           8
        .value_kind:     global_buffer
      - .actual_access:  read_only
        .address_space:  global
        .offset:         8
        .size:           8
        .value_kind:     global_buffer
      - .actual_access:  read_only
        .address_space:  global
        .offset:         16
        .size:           8
        .value_kind:     global_buffer
      - .actual_access:  read_only
        .address_space:  global
        .offset:         24
        .size:           8
        .value_kind:     global_buffer
      - .actual_access:  read_only
        .address_space:  global
        .offset:         32
        .size:           8
        .value_kind:     global_buffer
      - .offset:         40
        .size:           8
        .value_kind:     by_value
      - .address_space:  global
        .offset:         48
        .size:           8
        .value_kind:     global_buffer
      - .address_space:  global
        .offset:         56
        .size:           8
        .value_kind:     global_buffer
      - .address_space:  global
        .offset:         64
        .size:           8
        .value_kind:     global_buffer
      - .address_space:  global
        .offset:         72
        .size:           8
        .value_kind:     global_buffer
      - .offset:         80
        .size:           4
        .value_kind:     by_value
      - .address_space:  global
        .offset:         88
        .size:           8
        .value_kind:     global_buffer
      - .address_space:  global
        .offset:         96
        .size:           8
        .value_kind:     global_buffer
    .group_segment_fixed_size: 7560
    .kernarg_segment_align: 8
    .kernarg_segment_size: 104
    .language:       OpenCL C
    .language_version:
      - 2
      - 0
    .max_flat_workgroup_size: 126
    .name:           bluestein_single_fwd_len1890_dim1_half_op_CI_CI
    .private_segment_fixed_size: 0
    .sgpr_count:     27
    .sgpr_spill_count: 0
    .symbol:         bluestein_single_fwd_len1890_dim1_half_op_CI_CI.kd
    .uniform_work_group_size: 1
    .uses_dynamic_stack: false
    .vgpr_count:     165
    .vgpr_spill_count: 0
    .wavefront_size: 64
amdhsa.target:   amdgcn-amd-amdhsa--gfx906
amdhsa.version:
  - 1
  - 2
...

	.end_amdgpu_metadata
